;; amdgpu-corpus repo=ROCm/rocFFT kind=compiled arch=gfx1201 opt=O3
	.text
	.amdgcn_target "amdgcn-amd-amdhsa--gfx1201"
	.amdhsa_code_object_version 6
	.protected	fft_rtc_fwd_len676_factors_13_13_4_wgs_52_tpt_52_dp_op_CI_CI_sbrr_dirReg ; -- Begin function fft_rtc_fwd_len676_factors_13_13_4_wgs_52_tpt_52_dp_op_CI_CI_sbrr_dirReg
	.globl	fft_rtc_fwd_len676_factors_13_13_4_wgs_52_tpt_52_dp_op_CI_CI_sbrr_dirReg
	.p2align	8
	.type	fft_rtc_fwd_len676_factors_13_13_4_wgs_52_tpt_52_dp_op_CI_CI_sbrr_dirReg,@function
fft_rtc_fwd_len676_factors_13_13_4_wgs_52_tpt_52_dp_op_CI_CI_sbrr_dirReg: ; @fft_rtc_fwd_len676_factors_13_13_4_wgs_52_tpt_52_dp_op_CI_CI_sbrr_dirReg
; %bb.0:
	s_clause 0x2
	s_load_b128 s[12:15], s[0:1], 0x18
	s_load_b128 s[4:7], s[0:1], 0x0
	;; [unrolled: 1-line block ×3, first 2 shown]
	v_mul_u32_u24_e32 v1, 0x4ed, v0
	v_mov_b32_e32 v4, 0
	v_mov_b32_e32 v5, 0
	s_wait_kmcnt 0x0
	s_load_b64 s[18:19], s[12:13], 0x0
	s_load_b64 s[16:17], s[14:15], 0x0
	v_lshrrev_b32_e32 v2, 16, v1
	v_mov_b32_e32 v1, 0
	v_cmp_lt_u64_e64 s2, s[6:7], 2
	s_delay_alu instid0(VALU_DEP_2) | instskip(NEXT) | instid1(VALU_DEP_2)
	v_dual_mov_b32 v7, v1 :: v_dual_add_nc_u32 v6, ttmp9, v2
	s_and_b32 vcc_lo, exec_lo, s2
	s_cbranch_vccnz .LBB0_8
; %bb.1:
	s_load_b64 s[2:3], s[0:1], 0x10
	v_mov_b32_e32 v4, 0
	v_mov_b32_e32 v5, 0
	s_add_nc_u64 s[20:21], s[14:15], 8
	s_add_nc_u64 s[22:23], s[12:13], 8
	s_mov_b64 s[24:25], 1
	s_delay_alu instid0(VALU_DEP_1)
	v_dual_mov_b32 v65, v5 :: v_dual_mov_b32 v64, v4
	s_wait_kmcnt 0x0
	s_add_nc_u64 s[26:27], s[2:3], 8
	s_mov_b32 s3, 0
.LBB0_2:                                ; =>This Inner Loop Header: Depth=1
	s_load_b64 s[28:29], s[26:27], 0x0
                                        ; implicit-def: $vgpr66_vgpr67
	s_mov_b32 s2, exec_lo
	s_wait_kmcnt 0x0
	v_or_b32_e32 v2, s29, v7
	s_delay_alu instid0(VALU_DEP_1)
	v_cmpx_ne_u64_e32 0, v[1:2]
	s_wait_alu 0xfffe
	s_xor_b32 s30, exec_lo, s2
	s_cbranch_execz .LBB0_4
; %bb.3:                                ;   in Loop: Header=BB0_2 Depth=1
	s_cvt_f32_u32 s2, s28
	s_cvt_f32_u32 s31, s29
	s_sub_nc_u64 s[36:37], 0, s[28:29]
	s_wait_alu 0xfffe
	s_delay_alu instid0(SALU_CYCLE_1) | instskip(SKIP_1) | instid1(SALU_CYCLE_2)
	s_fmamk_f32 s2, s31, 0x4f800000, s2
	s_wait_alu 0xfffe
	v_s_rcp_f32 s2, s2
	s_delay_alu instid0(TRANS32_DEP_1) | instskip(SKIP_1) | instid1(SALU_CYCLE_2)
	s_mul_f32 s2, s2, 0x5f7ffffc
	s_wait_alu 0xfffe
	s_mul_f32 s31, s2, 0x2f800000
	s_wait_alu 0xfffe
	s_delay_alu instid0(SALU_CYCLE_2) | instskip(SKIP_1) | instid1(SALU_CYCLE_2)
	s_trunc_f32 s31, s31
	s_wait_alu 0xfffe
	s_fmamk_f32 s2, s31, 0xcf800000, s2
	s_cvt_u32_f32 s35, s31
	s_wait_alu 0xfffe
	s_delay_alu instid0(SALU_CYCLE_1) | instskip(SKIP_1) | instid1(SALU_CYCLE_2)
	s_cvt_u32_f32 s34, s2
	s_wait_alu 0xfffe
	s_mul_u64 s[38:39], s[36:37], s[34:35]
	s_wait_alu 0xfffe
	s_mul_hi_u32 s41, s34, s39
	s_mul_i32 s40, s34, s39
	s_mul_hi_u32 s2, s34, s38
	s_mul_i32 s33, s35, s38
	s_wait_alu 0xfffe
	s_add_nc_u64 s[40:41], s[2:3], s[40:41]
	s_mul_hi_u32 s31, s35, s38
	s_mul_hi_u32 s42, s35, s39
	s_add_co_u32 s2, s40, s33
	s_wait_alu 0xfffe
	s_add_co_ci_u32 s2, s41, s31
	s_mul_i32 s38, s35, s39
	s_add_co_ci_u32 s39, s42, 0
	s_wait_alu 0xfffe
	s_add_nc_u64 s[38:39], s[2:3], s[38:39]
	s_wait_alu 0xfffe
	v_add_co_u32 v2, s2, s34, s38
	s_delay_alu instid0(VALU_DEP_1) | instskip(SKIP_1) | instid1(VALU_DEP_1)
	s_cmp_lg_u32 s2, 0
	s_add_co_ci_u32 s35, s35, s39
	v_readfirstlane_b32 s34, v2
	s_wait_alu 0xfffe
	s_delay_alu instid0(VALU_DEP_1)
	s_mul_u64 s[36:37], s[36:37], s[34:35]
	s_wait_alu 0xfffe
	s_mul_hi_u32 s39, s34, s37
	s_mul_i32 s38, s34, s37
	s_mul_hi_u32 s2, s34, s36
	s_mul_i32 s33, s35, s36
	s_wait_alu 0xfffe
	s_add_nc_u64 s[38:39], s[2:3], s[38:39]
	s_mul_hi_u32 s31, s35, s36
	s_mul_hi_u32 s34, s35, s37
	s_wait_alu 0xfffe
	s_add_co_u32 s2, s38, s33
	s_add_co_ci_u32 s2, s39, s31
	s_mul_i32 s36, s35, s37
	s_add_co_ci_u32 s37, s34, 0
	s_wait_alu 0xfffe
	s_add_nc_u64 s[36:37], s[2:3], s[36:37]
	s_wait_alu 0xfffe
	v_add_co_u32 v8, s2, v2, s36
	s_delay_alu instid0(VALU_DEP_1) | instskip(SKIP_1) | instid1(VALU_DEP_1)
	s_cmp_lg_u32 s2, 0
	s_add_co_ci_u32 s2, s35, s37
	v_mul_hi_u32 v12, v6, v8
	s_wait_alu 0xfffe
	v_mad_co_u64_u32 v[2:3], null, v6, s2, 0
	v_mad_co_u64_u32 v[8:9], null, v7, v8, 0
	;; [unrolled: 1-line block ×3, first 2 shown]
	s_delay_alu instid0(VALU_DEP_3) | instskip(SKIP_1) | instid1(VALU_DEP_4)
	v_add_co_u32 v2, vcc_lo, v12, v2
	s_wait_alu 0xfffd
	v_add_co_ci_u32_e32 v3, vcc_lo, 0, v3, vcc_lo
	s_delay_alu instid0(VALU_DEP_2) | instskip(SKIP_1) | instid1(VALU_DEP_2)
	v_add_co_u32 v2, vcc_lo, v2, v8
	s_wait_alu 0xfffd
	v_add_co_ci_u32_e32 v2, vcc_lo, v3, v9, vcc_lo
	s_wait_alu 0xfffd
	v_add_co_ci_u32_e32 v3, vcc_lo, 0, v11, vcc_lo
	s_delay_alu instid0(VALU_DEP_2) | instskip(SKIP_1) | instid1(VALU_DEP_2)
	v_add_co_u32 v8, vcc_lo, v2, v10
	s_wait_alu 0xfffd
	v_add_co_ci_u32_e32 v9, vcc_lo, 0, v3, vcc_lo
	s_delay_alu instid0(VALU_DEP_2) | instskip(SKIP_1) | instid1(VALU_DEP_3)
	v_mul_lo_u32 v10, s29, v8
	v_mad_co_u64_u32 v[2:3], null, s28, v8, 0
	v_mul_lo_u32 v11, s28, v9
	s_delay_alu instid0(VALU_DEP_2) | instskip(NEXT) | instid1(VALU_DEP_2)
	v_sub_co_u32 v2, vcc_lo, v6, v2
	v_add3_u32 v3, v3, v11, v10
	s_delay_alu instid0(VALU_DEP_1) | instskip(SKIP_1) | instid1(VALU_DEP_1)
	v_sub_nc_u32_e32 v10, v7, v3
	s_wait_alu 0xfffd
	v_subrev_co_ci_u32_e64 v10, s2, s29, v10, vcc_lo
	v_add_co_u32 v11, s2, v8, 2
	s_wait_alu 0xf1ff
	v_add_co_ci_u32_e64 v12, s2, 0, v9, s2
	v_sub_co_u32 v13, s2, v2, s28
	v_sub_co_ci_u32_e32 v3, vcc_lo, v7, v3, vcc_lo
	s_wait_alu 0xf1ff
	v_subrev_co_ci_u32_e64 v10, s2, 0, v10, s2
	s_delay_alu instid0(VALU_DEP_3) | instskip(NEXT) | instid1(VALU_DEP_3)
	v_cmp_le_u32_e32 vcc_lo, s28, v13
	v_cmp_eq_u32_e64 s2, s29, v3
	s_wait_alu 0xfffd
	v_cndmask_b32_e64 v13, 0, -1, vcc_lo
	v_cmp_le_u32_e32 vcc_lo, s29, v10
	s_wait_alu 0xfffd
	v_cndmask_b32_e64 v14, 0, -1, vcc_lo
	v_cmp_le_u32_e32 vcc_lo, s28, v2
	;; [unrolled: 3-line block ×3, first 2 shown]
	s_wait_alu 0xfffd
	v_cndmask_b32_e64 v15, 0, -1, vcc_lo
	v_cmp_eq_u32_e32 vcc_lo, s29, v10
	s_wait_alu 0xf1ff
	s_delay_alu instid0(VALU_DEP_2)
	v_cndmask_b32_e64 v2, v15, v2, s2
	s_wait_alu 0xfffd
	v_cndmask_b32_e32 v10, v14, v13, vcc_lo
	v_add_co_u32 v13, vcc_lo, v8, 1
	s_wait_alu 0xfffd
	v_add_co_ci_u32_e32 v14, vcc_lo, 0, v9, vcc_lo
	s_delay_alu instid0(VALU_DEP_3) | instskip(SKIP_1) | instid1(VALU_DEP_2)
	v_cmp_ne_u32_e32 vcc_lo, 0, v10
	s_wait_alu 0xfffd
	v_dual_cndmask_b32 v3, v14, v12 :: v_dual_cndmask_b32 v10, v13, v11
	v_cmp_ne_u32_e32 vcc_lo, 0, v2
	s_wait_alu 0xfffd
	s_delay_alu instid0(VALU_DEP_2)
	v_dual_cndmask_b32 v67, v9, v3 :: v_dual_cndmask_b32 v66, v8, v10
.LBB0_4:                                ;   in Loop: Header=BB0_2 Depth=1
	s_wait_alu 0xfffe
	s_and_not1_saveexec_b32 s2, s30
	s_cbranch_execz .LBB0_6
; %bb.5:                                ;   in Loop: Header=BB0_2 Depth=1
	v_cvt_f32_u32_e32 v2, s28
	s_sub_co_i32 s30, 0, s28
	v_mov_b32_e32 v67, v1
	s_delay_alu instid0(VALU_DEP_2) | instskip(NEXT) | instid1(TRANS32_DEP_1)
	v_rcp_iflag_f32_e32 v2, v2
	v_mul_f32_e32 v2, 0x4f7ffffe, v2
	s_delay_alu instid0(VALU_DEP_1) | instskip(SKIP_1) | instid1(VALU_DEP_1)
	v_cvt_u32_f32_e32 v2, v2
	s_wait_alu 0xfffe
	v_mul_lo_u32 v3, s30, v2
	s_delay_alu instid0(VALU_DEP_1) | instskip(NEXT) | instid1(VALU_DEP_1)
	v_mul_hi_u32 v3, v2, v3
	v_add_nc_u32_e32 v2, v2, v3
	s_delay_alu instid0(VALU_DEP_1) | instskip(NEXT) | instid1(VALU_DEP_1)
	v_mul_hi_u32 v2, v6, v2
	v_mul_lo_u32 v3, v2, s28
	v_add_nc_u32_e32 v8, 1, v2
	s_delay_alu instid0(VALU_DEP_2) | instskip(NEXT) | instid1(VALU_DEP_1)
	v_sub_nc_u32_e32 v3, v6, v3
	v_subrev_nc_u32_e32 v9, s28, v3
	v_cmp_le_u32_e32 vcc_lo, s28, v3
	s_wait_alu 0xfffd
	s_delay_alu instid0(VALU_DEP_2) | instskip(NEXT) | instid1(VALU_DEP_1)
	v_dual_cndmask_b32 v3, v3, v9 :: v_dual_cndmask_b32 v2, v2, v8
	v_cmp_le_u32_e32 vcc_lo, s28, v3
	s_delay_alu instid0(VALU_DEP_2) | instskip(SKIP_1) | instid1(VALU_DEP_1)
	v_add_nc_u32_e32 v8, 1, v2
	s_wait_alu 0xfffd
	v_cndmask_b32_e32 v66, v2, v8, vcc_lo
.LBB0_6:                                ;   in Loop: Header=BB0_2 Depth=1
	s_wait_alu 0xfffe
	s_or_b32 exec_lo, exec_lo, s2
	v_mul_lo_u32 v8, v67, s28
	s_delay_alu instid0(VALU_DEP_2)
	v_mul_lo_u32 v9, v66, s29
	s_load_b64 s[30:31], s[22:23], 0x0
	v_mad_co_u64_u32 v[2:3], null, v66, s28, 0
	s_load_b64 s[28:29], s[20:21], 0x0
	s_add_nc_u64 s[24:25], s[24:25], 1
	s_add_nc_u64 s[20:21], s[20:21], 8
	s_wait_alu 0xfffe
	v_cmp_ge_u64_e64 s2, s[24:25], s[6:7]
	s_add_nc_u64 s[22:23], s[22:23], 8
	s_add_nc_u64 s[26:27], s[26:27], 8
	v_add3_u32 v3, v3, v9, v8
	v_sub_co_u32 v2, vcc_lo, v6, v2
	s_wait_alu 0xfffd
	s_delay_alu instid0(VALU_DEP_2) | instskip(SKIP_2) | instid1(VALU_DEP_1)
	v_sub_co_ci_u32_e32 v3, vcc_lo, v7, v3, vcc_lo
	s_and_b32 vcc_lo, exec_lo, s2
	s_wait_kmcnt 0x0
	v_mul_lo_u32 v6, s30, v3
	v_mul_lo_u32 v7, s31, v2
	v_mad_co_u64_u32 v[4:5], null, s30, v2, v[4:5]
	v_mul_lo_u32 v3, s28, v3
	v_mul_lo_u32 v8, s29, v2
	v_mad_co_u64_u32 v[64:65], null, s28, v2, v[64:65]
	s_delay_alu instid0(VALU_DEP_4) | instskip(NEXT) | instid1(VALU_DEP_2)
	v_add3_u32 v5, v7, v5, v6
	v_add3_u32 v65, v8, v65, v3
	s_wait_alu 0xfffe
	s_cbranch_vccnz .LBB0_9
; %bb.7:                                ;   in Loop: Header=BB0_2 Depth=1
	v_dual_mov_b32 v6, v66 :: v_dual_mov_b32 v7, v67
	s_branch .LBB0_2
.LBB0_8:
	v_dual_mov_b32 v65, v5 :: v_dual_mov_b32 v64, v4
	s_delay_alu instid0(VALU_DEP_2)
	v_dual_mov_b32 v67, v7 :: v_dual_mov_b32 v66, v6
.LBB0_9:
	s_load_b64 s[0:1], s[0:1], 0x28
	v_mul_hi_u32 v1, 0x4ec4ec5, v0
	s_lshl_b64 s[2:3], s[6:7], 3
                                        ; implicit-def: $vgpr88
                                        ; implicit-def: $vgpr90
                                        ; implicit-def: $vgpr91
                                        ; implicit-def: $vgpr89
	s_wait_kmcnt 0x0
	v_cmp_gt_u64_e32 vcc_lo, s[0:1], v[66:67]
	v_cmp_le_u64_e64 s0, s[0:1], v[66:67]
	s_delay_alu instid0(VALU_DEP_1)
	s_and_saveexec_b32 s1, s0
	s_wait_alu 0xfffe
	s_xor_b32 s0, exec_lo, s1
; %bb.10:
	v_mul_u32_u24_e32 v1, 52, v1
                                        ; implicit-def: $vgpr4_vgpr5
	s_delay_alu instid0(VALU_DEP_1) | instskip(NEXT) | instid1(VALU_DEP_1)
	v_sub_nc_u32_e32 v88, v0, v1
                                        ; implicit-def: $vgpr1
                                        ; implicit-def: $vgpr0
	v_add_nc_u32_e32 v90, 52, v88
	v_add_nc_u32_e32 v91, 0x68, v88
	;; [unrolled: 1-line block ×3, first 2 shown]
; %bb.11:
	s_wait_alu 0xfffe
	s_or_saveexec_b32 s1, s0
	s_add_nc_u64 s[44:45], s[14:15], s[2:3]
                                        ; implicit-def: $vgpr50_vgpr51
                                        ; implicit-def: $vgpr46_vgpr47
                                        ; implicit-def: $vgpr26_vgpr27
                                        ; implicit-def: $vgpr34_vgpr35
                                        ; implicit-def: $vgpr18_vgpr19
                                        ; implicit-def: $vgpr14_vgpr15
                                        ; implicit-def: $vgpr2_vgpr3
                                        ; implicit-def: $vgpr10_vgpr11
                                        ; implicit-def: $vgpr22_vgpr23
                                        ; implicit-def: $vgpr30_vgpr31
                                        ; implicit-def: $vgpr38_vgpr39
                                        ; implicit-def: $vgpr42_vgpr43
                                        ; implicit-def: $vgpr6_vgpr7
	s_wait_alu 0xfffe
	s_xor_b32 exec_lo, exec_lo, s1
	s_cbranch_execz .LBB0_13
; %bb.12:
	s_add_nc_u64 s[2:3], s[12:13], s[2:3]
	v_mul_u32_u24_e32 v1, 52, v1
	s_load_b64 s[2:3], s[2:3], 0x0
	v_lshlrev_b64_e32 v[4:5], 4, v[4:5]
	s_delay_alu instid0(VALU_DEP_2) | instskip(NEXT) | instid1(VALU_DEP_1)
	v_sub_nc_u32_e32 v88, v0, v1
	v_add_nc_u32_e32 v90, 52, v88
	v_mad_co_u64_u32 v[0:1], null, s18, v88, 0
	v_add_nc_u32_e32 v91, 0x68, v88
	v_add_nc_u32_e32 v89, 0x9c, v88
	s_delay_alu instid0(VALU_DEP_4) | instskip(SKIP_1) | instid1(VALU_DEP_4)
	v_mad_co_u64_u32 v[2:3], null, s18, v90, 0
	v_add_nc_u32_e32 v17, 0x104, v88
	v_mad_co_u64_u32 v[8:9], null, s18, v91, 0
	s_delay_alu instid0(VALU_DEP_4)
	v_mad_co_u64_u32 v[10:11], null, s18, v89, 0
	s_wait_kmcnt 0x0
	v_mul_lo_u32 v14, s3, v66
	v_mul_lo_u32 v15, s2, v67
	v_mad_co_u64_u32 v[6:7], null, s2, v66, 0
	v_mad_co_u64_u32 v[12:13], null, s19, v88, v[1:2]
	v_add_nc_u32_e32 v23, 0x23c, v88
	v_add_nc_u32_e32 v18, 0x138, v88
	;; [unrolled: 1-line block ×4, first 2 shown]
	v_add3_u32 v7, v7, v15, v14
	v_mov_b32_e32 v1, v12
	v_mad_co_u64_u32 v[12:13], null, s19, v90, v[3:4]
	s_delay_alu instid0(VALU_DEP_3) | instskip(SKIP_1) | instid1(VALU_DEP_4)
	v_lshlrev_b64_e32 v[6:7], 4, v[6:7]
	v_add_nc_u32_e32 v16, 0xd0, v88
	v_lshlrev_b64_e32 v[0:1], 4, v[0:1]
	v_mad_co_u64_u32 v[13:14], null, s19, v91, v[9:10]
	v_mov_b32_e32 v3, v12
	v_add_co_u32 v6, s0, s8, v6
	s_wait_alu 0xf1ff
	v_add_co_ci_u32_e64 v7, s0, s9, v7, s0
	s_delay_alu instid0(VALU_DEP_3) | instskip(NEXT) | instid1(VALU_DEP_3)
	v_lshlrev_b64_e32 v[2:3], 4, v[2:3]
	v_add_co_u32 v21, s0, v6, v4
	s_wait_alu 0xf1ff
	s_delay_alu instid0(VALU_DEP_3) | instskip(SKIP_1) | instid1(VALU_DEP_3)
	v_add_co_ci_u32_e64 v22, s0, v7, v5, s0
	v_mad_co_u64_u32 v[14:15], null, s18, v16, 0
	v_add_co_u32 v0, s0, v21, v0
	s_wait_alu 0xf1ff
	s_delay_alu instid0(VALU_DEP_3)
	v_add_co_ci_u32_e64 v1, s0, v22, v1, s0
	v_add_co_u32 v2, s0, v21, v2
	s_wait_alu 0xf1ff
	v_add_co_ci_u32_e64 v3, s0, v22, v3, s0
	s_clause 0x1
	global_load_b128 v[4:7], v[0:1], off
	global_load_b128 v[48:51], v[2:3], off
	v_mov_b32_e32 v9, v13
	v_mad_co_u64_u32 v[11:12], null, s19, v89, v[11:12]
	v_mov_b32_e32 v2, v15
	v_mad_co_u64_u32 v[12:13], null, s18, v18, 0
	s_delay_alu instid0(VALU_DEP_4) | instskip(SKIP_1) | instid1(VALU_DEP_4)
	v_lshlrev_b64_e32 v[0:1], 4, v[8:9]
	v_mad_co_u64_u32 v[8:9], null, s18, v17, 0
	v_mad_co_u64_u32 v[2:3], null, s19, v16, v[2:3]
	v_lshlrev_b64_e32 v[10:11], 4, v[10:11]
	s_delay_alu instid0(VALU_DEP_4) | instskip(SKIP_3) | instid1(VALU_DEP_4)
	v_add_co_u32 v0, s0, v21, v0
	s_wait_alu 0xf1ff
	v_add_co_ci_u32_e64 v1, s0, v22, v1, s0
	v_mov_b32_e32 v3, v9
	v_add_co_u32 v9, s0, v21, v10
	v_mov_b32_e32 v15, v2
	s_wait_alu 0xf1ff
	v_add_co_ci_u32_e64 v10, s0, v22, v11, s0
	s_clause 0x1
	global_load_b128 v[44:47], v[0:1], off
	global_load_b128 v[40:43], v[9:10], off
	v_lshlrev_b64_e32 v[0:1], 4, v[14:15]
	v_mad_co_u64_u32 v[14:15], null, s18, v20, 0
	s_delay_alu instid0(VALU_DEP_2) | instskip(SKIP_1) | instid1(VALU_DEP_3)
	v_add_co_u32 v0, s0, v21, v0
	s_wait_alu 0xf1ff
	v_add_co_ci_u32_e64 v1, s0, v22, v1, s0
	s_wait_loadcnt 0x3
	v_mad_co_u64_u32 v[2:3], null, s19, v17, v[3:4]
	v_mov_b32_e32 v3, v13
	s_delay_alu instid0(VALU_DEP_1) | instskip(NEXT) | instid1(VALU_DEP_3)
	v_mad_co_u64_u32 v[10:11], null, s19, v18, v[3:4]
	v_dual_mov_b32 v9, v2 :: v_dual_add_nc_u32 v18, 0x1d4, v88
	s_delay_alu instid0(VALU_DEP_1) | instskip(NEXT) | instid1(VALU_DEP_3)
	v_lshlrev_b64_e32 v[8:9], 4, v[8:9]
	v_mov_b32_e32 v13, v10
	s_delay_alu instid0(VALU_DEP_2) | instskip(NEXT) | instid1(VALU_DEP_2)
	v_add_co_u32 v8, s0, v21, v8
	v_lshlrev_b64_e32 v[10:11], 4, v[12:13]
	s_wait_alu 0xf1ff
	s_delay_alu instid0(VALU_DEP_4)
	v_add_co_ci_u32_e64 v9, s0, v22, v9, s0
	s_clause 0x1
	global_load_b128 v[36:39], v[0:1], off
	global_load_b128 v[24:27], v[8:9], off
	v_add_co_u32 v0, s0, v21, v10
	s_wait_alu 0xf1ff
	v_add_co_ci_u32_e64 v1, s0, v22, v11, s0
	v_mad_co_u64_u32 v[10:11], null, s18, v18, 0
	v_add_nc_u32_e32 v19, 0x16c, v88
	s_delay_alu instid0(VALU_DEP_1) | instskip(NEXT) | instid1(VALU_DEP_1)
	v_mad_co_u64_u32 v[16:17], null, s18, v19, 0
	v_mov_b32_e32 v2, v17
	s_delay_alu instid0(VALU_DEP_1) | instskip(SKIP_1) | instid1(VALU_DEP_1)
	v_mad_co_u64_u32 v[2:3], null, s19, v19, v[2:3]
	v_add_nc_u32_e32 v3, 0x1a0, v88
	v_mad_co_u64_u32 v[12:13], null, s18, v3, 0
	s_delay_alu instid0(VALU_DEP_3) | instskip(NEXT) | instid1(VALU_DEP_1)
	v_mov_b32_e32 v17, v2
	v_lshlrev_b64_e32 v[8:9], 4, v[16:17]
	s_delay_alu instid0(VALU_DEP_3) | instskip(SKIP_1) | instid1(VALU_DEP_2)
	v_mov_b32_e32 v2, v13
	v_mad_co_u64_u32 v[16:17], null, s18, v23, 0
	v_mad_co_u64_u32 v[2:3], null, s19, v3, v[2:3]
	v_mov_b32_e32 v3, v15
	v_add_co_u32 v8, s0, v21, v8
	s_wait_alu 0xf1ff
	v_add_co_ci_u32_e64 v9, s0, v22, v9, s0
	s_clause 0x1
	global_load_b128 v[32:35], v[0:1], off
	global_load_b128 v[28:31], v[8:9], off
	v_dual_mov_b32 v13, v2 :: v_dual_mov_b32 v2, v11
	v_mov_b32_e32 v0, v17
	s_delay_alu instid0(VALU_DEP_2) | instskip(NEXT) | instid1(VALU_DEP_3)
	v_lshlrev_b64_e32 v[8:9], 4, v[12:13]
	v_mad_co_u64_u32 v[18:19], null, s19, v18, v[2:3]
	v_mad_co_u64_u32 v[2:3], null, s19, v20, v[3:4]
	;; [unrolled: 1-line block ×4, first 2 shown]
	s_delay_alu instid0(VALU_DEP_4) | instskip(NEXT) | instid1(VALU_DEP_4)
	v_mov_b32_e32 v11, v18
	v_mov_b32_e32 v15, v2
	v_add_co_u32 v2, s0, v21, v8
	v_mov_b32_e32 v1, v20
	s_wait_alu 0xf1ff
	v_add_co_ci_u32_e64 v3, s0, v22, v9, s0
	v_lshlrev_b64_e32 v[8:9], 4, v[10:11]
	v_mov_b32_e32 v17, v0
	v_mad_co_u64_u32 v[10:11], null, s19, v52, v[1:2]
	v_lshlrev_b64_e32 v[11:12], 4, v[14:15]
	s_delay_alu instid0(VALU_DEP_4) | instskip(SKIP_2) | instid1(VALU_DEP_4)
	v_add_co_u32 v0, s0, v21, v8
	s_wait_alu 0xf1ff
	v_add_co_ci_u32_e64 v1, s0, v22, v9, s0
	v_mov_b32_e32 v20, v10
	v_lshlrev_b64_e32 v[8:9], 4, v[16:17]
	v_add_co_u32 v10, s0, v21, v11
	s_wait_alu 0xf1ff
	v_add_co_ci_u32_e64 v11, s0, v22, v12, s0
	v_lshlrev_b64_e32 v[12:13], 4, v[19:20]
	s_delay_alu instid0(VALU_DEP_4) | instskip(SKIP_2) | instid1(VALU_DEP_3)
	v_add_co_u32 v8, s0, v21, v8
	s_wait_alu 0xf1ff
	v_add_co_ci_u32_e64 v9, s0, v22, v9, s0
	v_add_co_u32 v52, s0, v21, v12
	s_wait_alu 0xf1ff
	v_add_co_ci_u32_e64 v53, s0, v22, v13, s0
	s_clause 0x4
	global_load_b128 v[20:23], v[2:3], off
	global_load_b128 v[16:19], v[0:1], off
	;; [unrolled: 1-line block ×5, first 2 shown]
.LBB0_13:
	s_or_b32 exec_lo, exec_lo, s1
	s_wait_loadcnt 0xb
	v_add_f64_e32 v[54:55], v[48:49], v[4:5]
	v_add_f64_e32 v[56:57], v[50:51], v[6:7]
	s_wait_loadcnt 0x0
	v_add_f64_e32 v[60:61], v[48:49], v[0:1]
	v_add_f64_e64 v[62:63], v[48:49], -v[0:1]
	s_mov_b32 s2, 0x1ea71119
	s_mov_b32 s20, 0x42a4c3d2
	;; [unrolled: 1-line block ×24, first 2 shown]
	v_add_f64_e32 v[52:53], v[50:51], v[2:3]
	v_add_f64_e64 v[48:49], v[50:51], -v[2:3]
	s_mov_b32 s19, 0x3fddbe06
	s_mov_b32 s37, 0xbfddbe06
	;; [unrolled: 1-line block ×3, first 2 shown]
	v_add_f64_e32 v[86:87], v[44:45], v[8:9]
	v_add_f64_e32 v[50:51], v[46:47], v[10:11]
	v_add_f64_e64 v[92:93], v[44:45], -v[8:9]
	v_add_f64_e32 v[100:101], v[24:25], v[20:21]
	v_add_f64_e64 v[80:81], v[24:25], -v[20:21]
	v_add_f64_e32 v[58:59], v[44:45], v[54:55]
	v_add_f64_e32 v[56:57], v[46:47], v[56:57]
	v_add_f64_e64 v[54:55], v[46:47], -v[10:11]
	v_add_f64_e32 v[44:45], v[26:27], v[22:23]
	v_add_f64_e64 v[46:47], v[26:27], -v[22:23]
	s_wait_alu 0xfffe
	s_mov_b32 s36, s18
	v_mul_f64_e32 v[108:109], s[2:3], v[60:61]
	v_mul_f64_e32 v[120:121], s[24:25], v[62:63]
	s_mov_b32 s42, 0x24c2f84
	v_add_f64_e32 v[94:95], v[12:13], v[40:41]
	v_add_f64_e64 v[96:97], v[40:41], -v[12:13]
	v_mul_f64_e32 v[106:107], s[0:1], v[60:61]
	v_mul_f64_e32 v[110:111], s[6:7], v[60:61]
	;; [unrolled: 1-line block ×6, first 2 shown]
	s_mov_b32 s43, 0x3fe5384d
	s_mov_b32 s29, 0xbfe5384d
	;; [unrolled: 1-line block ×3, first 2 shown]
	v_mul_f64_e32 v[116:117], s[14:15], v[60:61]
	s_wait_alu 0xfffe
	v_mul_f64_e32 v[118:119], s[36:37], v[62:63]
	s_mov_b32 s30, 0x4bc48dbf
	s_mov_b32 s31, 0x3fcea1e5
	s_mov_b32 s35, 0xbfcea1e5
	s_wait_alu 0xfffe
	s_mov_b32 s34, s30
	v_mul_f64_e32 v[126:127], s[28:29], v[62:63]
	s_wait_alu 0xfffe
	v_mul_f64_e32 v[128:129], s[34:35], v[62:63]
	v_add_f64_e32 v[78:79], v[14:15], v[42:43]
	v_add_f64_e64 v[84:85], v[42:43], -v[14:15]
	v_add_f64_e32 v[98:99], v[16:17], v[36:37]
	v_add_f64_e64 v[82:83], v[36:37], -v[16:17]
	v_add_f64_e32 v[70:71], v[32:33], v[28:29]
	v_mul_f64_e32 v[140:141], s[8:9], v[86:87]
	v_mul_f64_e32 v[130:131], s[2:3], v[86:87]
	;; [unrolled: 1-line block ×5, first 2 shown]
	v_add_f64_e32 v[102:103], v[40:41], v[58:59]
	v_add_f64_e32 v[104:105], v[42:43], v[56:57]
	v_mul_f64_e32 v[152:153], s[12:13], v[86:87]
	v_mul_f64_e32 v[154:155], s[6:7], v[86:87]
	;; [unrolled: 1-line block ×4, first 2 shown]
	v_fma_f64 v[202:203], v[48:49], s[20:21], v[108:109]
	v_fma_f64 v[212:213], v[52:53], s[2:3], v[120:121]
	v_mul_f64_e32 v[158:159], s[42:43], v[92:93]
	v_mul_f64_e32 v[134:135], s[6:7], v[94:95]
	;; [unrolled: 1-line block ×15, first 2 shown]
	v_fma_f64 v[200:201], v[48:49], s[18:19], v[106:107]
	v_fma_f64 v[106:107], v[48:49], s[36:37], v[106:107]
	;; [unrolled: 1-line block ×9, first 2 shown]
	v_fma_f64 v[122:123], v[52:53], s[6:7], -v[122:123]
	v_fma_f64 v[216:217], v[52:53], s[8:9], v[124:125]
	v_fma_f64 v[124:125], v[52:53], s[8:9], -v[124:125]
	v_fma_f64 v[114:115], v[48:49], s[28:29], v[114:115]
	v_fma_f64 v[210:211], v[48:49], s[30:31], v[116:117]
	;; [unrolled: 1-line block ×3, first 2 shown]
	v_add_f64_e32 v[102:103], v[36:37], v[102:103]
	v_add_f64_e32 v[104:105], v[38:39], v[104:105]
	v_fma_f64 v[116:117], v[52:53], s[0:1], v[118:119]
	v_fma_f64 v[218:219], v[52:53], s[12:13], v[126:127]
	v_fma_f64 v[126:127], v[52:53], s[12:13], -v[126:127]
	v_fma_f64 v[120:121], v[52:53], s[2:3], -v[120:121]
	v_fma_f64 v[220:221], v[52:53], s[14:15], v[128:129]
	v_fma_f64 v[118:119], v[52:53], s[0:1], -v[118:119]
	v_fma_f64 v[52:53], v[52:53], s[14:15], -v[128:129]
	v_fma_f64 v[230:231], v[54:55], s[40:41], v[140:141]
	v_fma_f64 v[232:233], v[50:51], s[8:9], v[142:143]
	v_add_f64_e32 v[202:203], v[202:203], v[4:5]
	v_add_f64_e32 v[212:213], v[212:213], v[6:7]
	v_add_f64_e64 v[68:69], v[32:33], -v[28:29]
	v_add_f64_e32 v[40:41], v[34:35], v[30:31]
	v_add_f64_e64 v[42:43], v[34:35], -v[30:31]
	v_fma_f64 v[128:129], v[54:55], s[20:21], v[130:131]
	v_fma_f64 v[222:223], v[50:51], s[2:3], v[132:133]
	;; [unrolled: 1-line block ×12, first 2 shown]
	v_fma_f64 v[158:159], v[50:51], s[12:13], -v[158:159]
	v_fma_f64 v[244:245], v[50:51], s[6:7], v[160:161]
	v_fma_f64 v[160:161], v[50:51], s[6:7], -v[160:161]
	v_fma_f64 v[246:247], v[50:51], s[0:1], v[92:93]
	v_fma_f64 v[248:249], v[84:85], s[36:37], v[164:165]
	;; [unrolled: 1-line block ×7, first 2 shown]
	v_add_f64_e32 v[24:25], v[24:25], v[102:103]
	v_add_f64_e32 v[26:27], v[26:27], v[104:105]
	;; [unrolled: 1-line block ×23, first 2 shown]
	v_add_f64_e64 v[76:77], v[38:39], -v[18:19]
	v_mul_f64_e32 v[148:149], s[12:13], v[98:99]
	v_mul_f64_e32 v[36:37], s[42:43], v[82:83]
	v_add_f64_e32 v[202:203], v[230:231], v[202:203]
	v_add_f64_e32 v[212:213], v[232:233], v[212:213]
	v_mul_f64_e32 v[138:139], s[8:9], v[98:99]
	v_mul_f64_e32 v[174:175], s[0:1], v[98:99]
	;; [unrolled: 1-line block ×10, first 2 shown]
	v_add_f64_e32 v[24:25], v[32:33], v[24:25]
	v_add_f64_e32 v[26:27], v[34:35], v[26:27]
	v_fma_f64 v[32:33], v[78:79], s[14:15], v[146:147]
	v_fma_f64 v[34:35], v[54:55], s[26:27], v[140:141]
	v_fma_f64 v[140:141], v[50:51], s[8:9], -v[142:143]
	v_fma_f64 v[142:143], v[84:85], s[34:35], v[144:145]
	v_fma_f64 v[144:145], v[78:79], s[14:15], -v[146:147]
	v_fma_f64 v[146:147], v[54:55], s[30:31], v[150:151]
	v_fma_f64 v[150:151], v[54:55], s[34:35], v[150:151]
	;; [unrolled: 1-line block ×3, first 2 shown]
	v_fma_f64 v[86:87], v[50:51], s[2:3], -v[132:133]
	v_fma_f64 v[132:133], v[50:51], s[14:15], v[156:157]
	v_fma_f64 v[156:157], v[50:51], s[14:15], -v[156:157]
	v_fma_f64 v[50:51], v[50:51], s[0:1], -v[92:93]
	v_fma_f64 v[92:93], v[84:85], s[38:39], v[134:135]
	v_fma_f64 v[134:135], v[84:85], s[26:27], v[162:163]
	;; [unrolled: 1-line block ×4, first 2 shown]
	v_fma_f64 v[94:95], v[78:79], s[6:7], -v[136:137]
	v_fma_f64 v[136:137], v[78:79], s[8:9], v[168:169]
	v_fma_f64 v[168:169], v[78:79], s[8:9], -v[168:169]
	v_add_f64_e32 v[106:107], v[130:131], v[106:107]
	v_add_f64_e32 v[112:113], v[152:153], v[112:113]
	;; [unrolled: 1-line block ×10, first 2 shown]
	v_mul_f64_e32 v[98:99], s[2:3], v[98:99]
	v_add_f64_e32 v[160:161], v[240:241], v[210:211]
	v_add_f64_e32 v[210:211], v[246:247], v[220:221]
	v_mul_f64_e32 v[38:39], s[6:7], v[100:101]
	v_mul_f64_e32 v[102:103], s[24:25], v[80:81]
	;; [unrolled: 1-line block ×4, first 2 shown]
	v_add_f64_e32 v[24:25], v[28:29], v[24:25]
	v_add_f64_e32 v[26:27], v[30:31], v[26:27]
	v_fma_f64 v[28:29], v[78:79], s[0:1], -v[170:171]
	v_fma_f64 v[30:31], v[78:79], s[2:3], v[172:173]
	v_fma_f64 v[170:171], v[78:79], s[2:3], -v[172:173]
	v_fma_f64 v[172:173], v[78:79], s[12:13], v[96:97]
	v_fma_f64 v[78:79], v[78:79], s[12:13], -v[96:97]
	v_add_f64_e32 v[96:97], v[200:201], v[4:5]
	v_add_f64_e32 v[4:5], v[48:49], v[4:5]
	v_add_f64_e32 v[34:35], v[34:35], v[108:109]
	v_add_f64_e32 v[146:147], v[146:147], v[204:205]
	v_add_f64_e32 v[132:133], v[132:133], v[214:215]
	v_add_f64_e32 v[110:111], v[150:151], v[110:111]
	v_add_f64_e32 v[122:123], v[156:157], v[122:123]
	v_add_f64_e32 v[120:121], v[140:141], v[120:121]
	v_add_f64_e32 v[6:7], v[50:51], v[6:7]
	v_add_f64_e32 v[86:87], v[86:87], v[118:119]
	v_fma_f64 v[200:201], v[76:77], s[28:29], v[148:149]
	v_fma_f64 v[150:151], v[58:59], s[12:13], v[36:37]
	v_add_f64_e32 v[118:119], v[234:235], v[202:203]
	v_add_f64_e32 v[32:33], v[32:33], v[212:213]
	v_mul_f64_e32 v[192:193], s[2:3], v[100:101]
	v_mul_f64_e32 v[196:197], s[0:1], v[100:101]
	v_fma_f64 v[228:229], v[76:77], s[40:41], v[138:139]
	v_fma_f64 v[148:149], v[76:77], s[42:43], v[148:149]
	;; [unrolled: 1-line block ×6, first 2 shown]
	v_fma_f64 v[154:155], v[44:45], s[6:7], -v[180:181]
	v_fma_f64 v[180:181], v[58:59], s[0:1], v[186:187]
	v_fma_f64 v[186:187], v[58:59], s[0:1], -v[186:187]
	v_mul_f64_e32 v[62:63], s[28:29], v[80:81]
	v_fma_f64 v[140:141], v[58:59], s[8:9], v[74:75]
	v_add_f64_e32 v[116:117], v[226:227], v[116:117]
	v_mul_f64_e32 v[194:195], s[14:15], v[100:101]
	v_mul_f64_e32 v[198:199], s[18:19], v[80:81]
	v_fma_f64 v[174:175], v[76:77], s[22:23], v[176:177]
	v_add_f64_e32 v[20:21], v[20:21], v[24:25]
	v_add_f64_e32 v[22:23], v[22:23], v[26:27]
	v_fma_f64 v[24:25], v[76:77], s[34:35], v[178:179]
	v_add_f64_e32 v[28:29], v[28:29], v[124:125]
	v_add_f64_e32 v[124:125], v[250:251], v[152:153]
	v_fma_f64 v[26:27], v[76:77], s[30:31], v[178:179]
	v_fma_f64 v[36:37], v[58:59], s[12:13], -v[36:37]
	v_add_f64_e32 v[96:97], v[128:129], v[96:97]
	v_add_f64_e32 v[4:5], v[54:55], v[4:5]
	v_fma_f64 v[54:55], v[58:59], s[6:7], -v[188:189]
	v_add_f64_e32 v[34:35], v[142:143], v[34:35]
	v_fma_f64 v[74:75], v[58:59], s[8:9], -v[74:75]
	v_add_f64_e32 v[110:111], v[162:163], v[110:111]
	v_add_f64_e32 v[122:123], v[168:169], v[122:123]
	v_fma_f64 v[218:219], v[58:59], s[6:7], v[188:189]
	v_fma_f64 v[50:51], v[58:59], s[14:15], v[190:191]
	v_fma_f64 v[188:189], v[58:59], s[14:15], -v[190:191]
	v_add_f64_e32 v[30:31], v[30:31], v[158:159]
	v_add_f64_e32 v[126:127], v[170:171], v[126:127]
	;; [unrolled: 1-line block ×3, first 2 shown]
	v_mul_f64_e32 v[100:101], s[8:9], v[100:101]
	v_mul_f64_e32 v[80:81], s[26:27], v[80:81]
	v_fma_f64 v[176:177], v[76:77], s[38:39], v[176:177]
	v_fma_f64 v[178:179], v[76:77], s[24:25], v[98:99]
	v_add_f64_e32 v[112:113], v[164:165], v[112:113]
	v_add_f64_e32 v[142:143], v[252:253], v[160:161]
	;; [unrolled: 1-line block ×3, first 2 shown]
	v_fma_f64 v[76:77], v[76:77], s[20:21], v[98:99]
	v_add_f64_e32 v[6:7], v[78:79], v[6:7]
	v_add_f64_e32 v[86:87], v[94:95], v[86:87]
	v_mul_f64_e32 v[182:183], s[0:1], v[70:71]
	v_mul_f64_e32 v[184:185], s[18:19], v[68:69]
	v_fma_f64 v[156:157], v[46:47], s[38:39], v[38:39]
	v_fma_f64 v[160:161], v[44:45], s[2:3], v[102:103]
	;; [unrolled: 1-line block ×3, first 2 shown]
	v_add_f64_e32 v[32:33], v[150:151], v[32:33]
	v_mul_f64_e32 v[56:57], s[34:35], v[68:69]
	v_mul_f64_e32 v[98:99], s[12:13], v[70:71]
	v_add_f64_e32 v[16:17], v[16:17], v[20:21]
	v_add_f64_e32 v[18:19], v[18:19], v[22:23]
	;; [unrolled: 1-line block ×5, first 2 shown]
	v_fma_f64 v[20:21], v[58:59], s[2:3], v[82:83]
	v_add_f64_e32 v[132:133], v[248:249], v[206:207]
	v_add_f64_e32 v[96:97], v[224:225], v[96:97]
	;; [unrolled: 1-line block ×3, first 2 shown]
	v_fma_f64 v[58:59], v[58:59], s[2:3], -v[82:83]
	v_add_f64_e32 v[82:83], v[166:167], v[114:115]
	v_add_f64_e32 v[4:5], v[84:85], v[4:5]
	v_fma_f64 v[84:85], v[44:45], s[2:3], -v[102:103]
	v_fma_f64 v[102:103], v[44:45], s[14:15], -v[104:105]
	v_add_f64_e32 v[104:105], v[200:201], v[118:119]
	v_mul_f64_e32 v[222:223], s[20:21], v[68:69]
	v_mul_f64_e32 v[232:233], s[26:27], v[68:69]
	;; [unrolled: 1-line block ×4, first 2 shown]
	v_fma_f64 v[130:131], v[46:47], s[42:43], v[72:73]
	v_fma_f64 v[38:39], v[46:47], s[22:23], v[38:39]
	;; [unrolled: 1-line block ×5, first 2 shown]
	v_add_f64_e32 v[34:35], v[148:149], v[34:35]
	v_add_f64_e32 v[52:53], v[52:53], v[110:111]
	;; [unrolled: 1-line block ×4, first 2 shown]
	v_mul_f64_e32 v[60:61], s[14:15], v[70:71]
	v_fma_f64 v[204:205], v[44:45], s[12:13], v[62:63]
	v_mul_f64_e32 v[128:129], s[2:3], v[70:71]
	v_fma_f64 v[72:73], v[46:47], s[28:29], v[72:73]
	v_fma_f64 v[144:145], v[46:47], s[34:35], v[194:195]
	v_add_f64_e32 v[30:31], v[50:51], v[30:31]
	v_fma_f64 v[50:51], v[46:47], s[18:19], v[196:197]
	v_mul_f64_e32 v[230:231], s[8:9], v[70:71]
	v_add_f64_e32 v[36:37], v[36:37], v[120:121]
	v_mul_f64_e32 v[70:71], s[6:7], v[70:71]
	v_add_f64_e32 v[12:13], v[12:13], v[16:17]
	v_add_f64_e32 v[14:15], v[14:15], v[18:19]
	;; [unrolled: 1-line block ×6, first 2 shown]
	v_fma_f64 v[16:17], v[44:45], s[0:1], v[198:199]
	v_add_f64_e32 v[94:95], v[228:229], v[96:97]
	v_add_f64_e32 v[96:97], v[140:141], v[116:117]
	;; [unrolled: 1-line block ×5, first 2 shown]
	v_fma_f64 v[82:83], v[44:45], s[0:1], -v[198:199]
	v_add_f64_e32 v[116:117], v[188:189], v[126:127]
	v_fma_f64 v[146:147], v[46:47], s[30:31], v[194:195]
	v_add_f64_e32 v[112:113], v[176:177], v[112:113]
	v_fma_f64 v[118:119], v[46:47], s[40:41], v[100:101]
	;; [unrolled: 2-line block ×4, first 2 shown]
	v_add_f64_e32 v[4:5], v[76:77], v[4:5]
	v_fma_f64 v[76:77], v[44:45], s[8:9], -v[80:81]
	v_add_f64_e32 v[6:7], v[58:59], v[6:7]
	v_fma_f64 v[44:45], v[44:45], s[12:13], -v[62:63]
	v_add_f64_e32 v[62:63], v[74:75], v[86:87]
	v_fma_f64 v[122:123], v[42:43], s[36:37], v[182:183]
	v_fma_f64 v[124:125], v[40:41], s[0:1], v[184:185]
	v_add_f64_e32 v[86:87], v[156:157], v[104:105]
	v_add_f64_e32 v[32:33], v[208:209], v[32:33]
	;; [unrolled: 1-line block ×3, first 2 shown]
	v_fma_f64 v[214:215], v[42:43], s[30:31], v[60:61]
	v_fma_f64 v[54:55], v[40:41], s[14:15], v[56:57]
	;; [unrolled: 1-line block ×5, first 2 shown]
	v_add_f64_e32 v[36:37], v[154:155], v[36:37]
	v_fma_f64 v[56:57], v[40:41], s[14:15], -v[56:57]
	v_add_f64_e32 v[8:9], v[8:9], v[12:13]
	v_add_f64_e32 v[10:11], v[10:11], v[14:15]
	;; [unrolled: 1-line block ×10, first 2 shown]
	v_fma_f64 v[24:25], v[42:43], s[42:43], v[98:99]
	v_fma_f64 v[28:29], v[42:43], s[28:29], v[98:99]
	;; [unrolled: 1-line block ×3, first 2 shown]
	v_add_f64_e32 v[80:81], v[204:205], v[96:97]
	v_add_f64_e32 v[72:73], v[144:145], v[106:107]
	;; [unrolled: 1-line block ×6, first 2 shown]
	v_fma_f64 v[30:31], v[42:43], s[24:25], v[128:129]
	v_fma_f64 v[82:83], v[40:41], s[2:3], v[222:223]
	v_fma_f64 v[14:15], v[40:41], s[0:1], -v[184:185]
	v_fma_f64 v[106:107], v[40:41], s[8:9], v[232:233]
	v_add_f64_e32 v[84:85], v[146:147], v[112:113]
	v_fma_f64 v[16:17], v[42:43], s[34:35], v[60:61]
	v_add_f64_e32 v[60:61], v[118:119], v[120:121]
	v_add_f64_e32 v[102:103], v[126:127], v[20:21]
	v_fma_f64 v[110:111], v[42:43], s[38:39], v[70:71]
	v_fma_f64 v[112:113], v[40:41], s[6:7], v[108:109]
	v_add_f64_e32 v[46:47], v[46:47], v[4:5]
	v_add_f64_e32 v[76:77], v[76:77], v[6:7]
	v_fma_f64 v[70:71], v[42:43], s[22:23], v[70:71]
	v_fma_f64 v[108:109], v[40:41], s[6:7], -v[108:109]
	v_fma_f64 v[114:115], v[42:43], s[26:27], v[230:231]
	v_fma_f64 v[68:69], v[40:41], s[12:13], -v[68:69]
	v_fma_f64 v[116:117], v[40:41], s[8:9], -v[232:233]
	;; [unrolled: 1-line block ×3, first 2 shown]
	v_add_f64_e32 v[62:63], v[44:45], v[62:63]
	v_add_f64_e32 v[0:1], v[0:1], v[8:9]
	;; [unrolled: 1-line block ×6, first 2 shown]
	s_load_b64 s[44:45], s[44:45], 0x0
	v_add_f64_e32 v[4:5], v[214:215], v[74:75]
	v_add_f64_e32 v[20:21], v[24:25], v[22:23]
	;; [unrolled: 1-line block ×5, first 2 shown]
	v_lshl_add_u32 v98, v91, 4, 0
	v_add_f64_e32 v[28:29], v[30:31], v[72:73]
	v_add_f64_e32 v[30:31], v[82:83], v[78:79]
	;; [unrolled: 1-line block ×7, first 2 shown]
	v_lshl_add_u32 v97, v90, 4, 0
	v_add_f64_e32 v[40:41], v[110:111], v[60:61]
	v_add_f64_e32 v[42:43], v[112:113], v[102:103]
	v_lshl_add_u32 v95, v89, 4, 0
	v_add_f64_e32 v[44:45], v[70:71], v[46:47]
	v_add_f64_e32 v[46:47], v[108:109], v[76:77]
	;; [unrolled: 1-line block ×4, first 2 shown]
	v_and_b32_e32 v52, 0xff, v88
	v_add_f64_e32 v[50:51], v[116:117], v[50:51]
	v_add_f64_e32 v[34:35], v[118:119], v[92:93]
	;; [unrolled: 1-line block ×3, first 2 shown]
	v_mad_u32_u24 v92, 0xd0, v88, 0
	v_mul_lo_u16 v52, 0x4f, v52
	ds_store_b128 v92, v[8:11] offset:32
	ds_store_b128 v92, v[20:23] offset:48
	;; [unrolled: 1-line block ×3, first 2 shown]
	ds_store_b128 v92, v[0:3]
	ds_store_b128 v92, v[28:31] offset:64
	ds_store_b128 v92, v[36:39] offset:80
	;; [unrolled: 1-line block ×4, first 2 shown]
	v_lshrrev_b16 v93, 10, v52
	ds_store_b128 v92, v[48:51] offset:128
	ds_store_b128 v92, v[32:35] offset:144
	;; [unrolled: 1-line block ×5, first 2 shown]
	v_mul_lo_u16 v52, v93, 13
	global_wb scope:SCOPE_SE
	s_wait_dscnt 0x0
	s_wait_kmcnt 0x0
	s_barrier_signal -1
	s_barrier_wait -1
	global_inv scope:SCOPE_SE
	v_sub_nc_u16 v52, v88, v52
	v_mad_i32_i24 v96, 0xffffff40, v88, v92
	s_delay_alu instid0(VALU_DEP_2) | instskip(NEXT) | instid1(VALU_DEP_1)
	v_and_b32_e32 v94, 0xff, v52
	v_mul_u32_u24_e32 v0, 12, v94
	s_delay_alu instid0(VALU_DEP_1)
	v_lshlrev_b32_e32 v0, 4, v0
	s_clause 0xb
	global_load_b128 v[4:7], v0, s[4:5]
	global_load_b128 v[8:11], v0, s[4:5] offset:176
	global_load_b128 v[12:15], v0, s[4:5] offset:16
	;; [unrolled: 1-line block ×11, first 2 shown]
	ds_load_b128 v[28:31], v97
	ds_load_b128 v[36:39], v96 offset:9984
	ds_load_b128 v[68:71], v98
	ds_load_b128 v[72:75], v95
	ds_load_b128 v[76:79], v96 offset:3328
	ds_load_b128 v[80:83], v96 offset:9152
	ds_load_b128 v[84:87], v96 offset:8320
	ds_load_b128 v[99:102], v96 offset:7488
	ds_load_b128 v[103:106], v96 offset:4160
	ds_load_b128 v[107:110], v96 offset:4992
	ds_load_b128 v[111:114], v96 offset:5824
	ds_load_b128 v[115:118], v96 offset:6656
	ds_load_b128 v[0:3], v96
	global_wb scope:SCOPE_SE
	s_wait_loadcnt_dscnt 0x0
	s_barrier_signal -1
	s_barrier_wait -1
	global_inv scope:SCOPE_SE
	v_mul_f64_e32 v[48:49], v[30:31], v[6:7]
	v_mul_f64_e32 v[6:7], v[28:29], v[6:7]
	;; [unrolled: 1-line block ×24, first 2 shown]
	v_fma_f64 v[141:142], v[28:29], v[4:5], -v[48:49]
	v_fma_f64 v[143:144], v[30:31], v[4:5], v[6:7]
	v_fma_f64 v[4:5], v[38:39], v[8:9], v[62:63]
	v_fma_f64 v[38:39], v[68:69], v[12:13], -v[119:120]
	v_fma_f64 v[6:7], v[36:37], v[8:9], -v[10:11]
	v_fma_f64 v[36:37], v[70:71], v[12:13], v[14:15]
	v_fma_f64 v[8:9], v[82:83], v[24:25], v[125:126]
	v_fma_f64 v[10:11], v[80:81], v[24:25], -v[127:128]
	v_fma_f64 v[12:13], v[86:87], v[32:33], v[129:130]
	v_fma_f64 v[14:15], v[84:85], v[32:33], -v[34:35]
	v_fma_f64 v[30:31], v[72:73], v[16:17], -v[121:122]
	v_fma_f64 v[28:29], v[74:75], v[16:17], v[18:19]
	v_fma_f64 v[24:25], v[115:116], v[54:55], -v[56:57]
	v_fma_f64 v[32:33], v[113:114], v[58:59], v[139:140]
	v_fma_f64 v[34:35], v[111:112], v[58:59], -v[60:61]
	v_fma_f64 v[26:27], v[76:77], v[20:21], -v[123:124]
	v_fma_f64 v[20:21], v[78:79], v[20:21], v[22:23]
	v_fma_f64 v[16:17], v[101:102], v[40:41], v[131:132]
	v_fma_f64 v[18:19], v[99:100], v[40:41], -v[42:43]
	v_fma_f64 v[22:23], v[117:118], v[54:55], v[137:138]
	v_fma_f64 v[40:41], v[109:110], v[50:51], v[52:53]
	v_fma_f64 v[48:49], v[103:104], v[44:45], -v[133:134]
	v_fma_f64 v[46:47], v[105:106], v[44:45], v[46:47]
	v_fma_f64 v[42:43], v[107:108], v[50:51], -v[135:136]
	v_add_f64_e32 v[86:87], v[0:1], v[141:142]
	v_add_f64_e32 v[84:85], v[2:3], v[143:144]
	v_add_f64_e64 v[82:83], v[143:144], -v[4:5]
	v_add_f64_e32 v[60:61], v[143:144], v[4:5]
	v_add_f64_e64 v[80:81], v[141:142], -v[6:7]
	;; [unrolled: 2-line block ×3, first 2 shown]
	v_add_f64_e64 v[70:71], v[38:39], -v[10:11]
	v_add_f64_e32 v[58:59], v[38:39], v[10:11]
	v_add_f64_e32 v[56:57], v[36:37], v[8:9]
	v_add_f64_e64 v[74:75], v[30:31], -v[14:15]
	v_add_f64_e64 v[76:77], v[28:29], -v[12:13]
	v_add_f64_e32 v[54:55], v[30:31], v[14:15]
	v_add_f64_e32 v[52:53], v[28:29], v[12:13]
	v_add_f64_e64 v[78:79], v[20:21], -v[16:17]
	;; [unrolled: 4-line block ×3, first 2 shown]
	v_add_f64_e32 v[107:108], v[48:49], v[24:25]
	v_add_f64_e64 v[99:100], v[46:47], -v[22:23]
	v_add_f64_e64 v[103:104], v[40:41], -v[32:33]
	;; [unrolled: 1-line block ×3, first 2 shown]
	v_add_f64_e32 v[109:110], v[42:43], v[34:35]
	v_add_f64_e32 v[111:112], v[40:41], v[32:33]
	;; [unrolled: 1-line block ×4, first 2 shown]
	v_mul_f64_e32 v[113:114], s[36:37], v[82:83]
	v_mul_f64_e32 v[115:116], s[24:25], v[82:83]
	;; [unrolled: 1-line block ×34, first 2 shown]
	v_add_f64_e32 v[86:87], v[46:47], v[22:23]
	v_mul_f64_e32 v[139:140], s[26:27], v[78:79]
	v_add_f64_e32 v[30:31], v[38:39], v[30:31]
	v_add_f64_e32 v[28:29], v[36:37], v[28:29]
	v_fma_f64 v[189:190], v[62:63], s[0:1], -v[113:114]
	v_fma_f64 v[113:114], v[62:63], s[0:1], v[113:114]
	v_fma_f64 v[191:192], v[62:63], s[2:3], -v[115:116]
	v_fma_f64 v[199:200], v[60:61], s[0:1], v[121:122]
	;; [unrolled: 2-line block ×3, first 2 shown]
	v_fma_f64 v[115:116], v[62:63], s[2:3], v[115:116]
	v_fma_f64 v[193:194], v[62:63], s[6:7], -v[117:118]
	v_fma_f64 v[117:118], v[62:63], s[6:7], v[117:118]
	v_fma_f64 v[195:196], v[62:63], s[8:9], -v[84:85]
	;; [unrolled: 2-line block ×5, first 2 shown]
	v_fma_f64 v[123:124], v[60:61], s[6:7], v[125:126]
	v_fma_f64 v[205:206], v[60:61], s[8:9], v[127:128]
	v_mul_f64_e32 v[36:37], s[18:19], v[72:73]
	v_fma_f64 v[207:208], v[60:61], s[14:15], v[80:81]
	v_fma_f64 v[125:126], v[60:61], s[6:7], -v[125:126]
	v_fma_f64 v[127:128], v[60:61], s[8:9], -v[127:128]
	;; [unrolled: 1-line block ×4, first 2 shown]
	v_fma_f64 v[217:218], v[56:57], s[8:9], v[145:146]
	v_fma_f64 v[225:226], v[58:59], s[14:15], -v[155:156]
	v_fma_f64 v[227:228], v[56:57], s[14:15], v[157:158]
	v_fma_f64 v[235:236], v[58:59], s[12:13], -v[165:166]
	;; [unrolled: 2-line block ×3, first 2 shown]
	v_fma_f64 v[247:248], v[56:57], s[6:7], v[175:176]
	v_mul_f64_e32 v[72:73], s[28:29], v[76:77]
	v_fma_f64 v[165:166], v[58:59], s[12:13], v[165:166]
	v_fma_f64 v[173:174], v[58:59], s[6:7], v[173:174]
	v_fma_f64 v[175:176], v[56:57], s[6:7], -v[175:176]
	v_fma_f64 v[167:168], v[56:57], s[12:13], -v[167:168]
	v_add_f64_e32 v[26:27], v[30:31], v[26:27]
	v_add_f64_e32 v[20:21], v[28:29], v[20:21]
	v_fma_f64 v[30:31], v[60:61], s[12:13], v[129:130]
	v_fma_f64 v[129:130], v[60:61], s[12:13], -v[129:130]
	v_fma_f64 v[60:61], v[60:61], s[14:15], -v[80:81]
	v_fma_f64 v[80:81], v[58:59], s[2:3], v[131:132]
	v_add_f64_e32 v[113:114], v[0:1], v[113:114]
	v_add_f64_e32 v[121:122], v[2:3], v[121:122]
	;; [unrolled: 1-line block ×14, first 2 shown]
	v_fma_f64 v[253:254], v[58:59], s[0:1], -v[36:37]
	v_add_f64_e32 v[207:208], v[2:3], v[207:208]
	v_fma_f64 v[36:37], v[58:59], s[0:1], v[36:37]
	v_add_f64_e32 v[117:118], v[0:1], v[117:118]
	v_add_f64_e32 v[125:126], v[2:3], v[125:126]
	;; [unrolled: 1-line block ×6, first 2 shown]
	v_fma_f64 v[143:144], v[58:59], s[8:9], v[143:144]
	v_fma_f64 v[155:156], v[58:59], s[14:15], v[155:156]
	v_fma_f64 v[157:158], v[56:57], s[14:15], -v[157:158]
	v_fma_f64 v[145:146], v[56:57], s[8:9], -v[145:146]
	;; [unrolled: 1-line block ×3, first 2 shown]
	v_mul_f64_e32 v[141:142], s[26:27], v[68:69]
	v_mul_f64_e32 v[151:152], s[42:43], v[78:79]
	;; [unrolled: 1-line block ×4, first 2 shown]
	v_add_f64_e32 v[26:27], v[26:27], v[48:49]
	v_add_f64_e32 v[20:21], v[20:21], v[46:47]
	;; [unrolled: 1-line block ×3, first 2 shown]
	v_fma_f64 v[48:49], v[56:57], s[0:1], v[70:71]
	v_fma_f64 v[70:71], v[56:57], s[0:1], -v[70:71]
	v_add_f64_e32 v[129:130], v[2:3], v[129:130]
	v_add_f64_e32 v[2:3], v[2:3], v[60:61]
	v_fma_f64 v[46:47], v[56:57], s[2:3], v[133:134]
	v_mul_f64_e32 v[38:39], s[38:39], v[78:79]
	v_mul_f64_e32 v[181:182], s[30:31], v[78:79]
	;; [unrolled: 1-line block ×7, first 2 shown]
	v_fma_f64 v[28:29], v[54:55], s[6:7], v[135:136]
	v_fma_f64 v[211:212], v[52:53], s[6:7], -v[137:138]
	v_fma_f64 v[219:220], v[54:55], s[14:15], -v[147:148]
	v_fma_f64 v[221:222], v[52:53], s[14:15], v[149:150]
	v_add_f64_e32 v[80:81], v[80:81], v[113:114]
	v_add_f64_e32 v[121:122], v[209:210], v[121:122]
	;; [unrolled: 1-line block ×4, first 2 shown]
	v_fma_f64 v[229:230], v[54:55], s[8:9], -v[159:160]
	v_fma_f64 v[231:232], v[52:53], s[8:9], v[161:162]
	v_add_f64_e32 v[193:194], v[225:226], v[193:194]
	v_add_f64_e32 v[123:124], v[227:228], v[123:124]
	v_fma_f64 v[239:240], v[54:55], s[0:1], -v[169:170]
	v_fma_f64 v[241:242], v[52:53], s[0:1], v[171:172]
	v_add_f64_e32 v[195:196], v[235:236], v[195:196]
	v_add_f64_e32 v[205:206], v[237:238], v[205:206]
	v_fma_f64 v[249:250], v[54:55], s[2:3], -v[177:178]
	v_fma_f64 v[251:252], v[52:53], s[2:3], v[179:180]
	v_add_f64_e32 v[197:198], v[245:246], v[197:198]
	v_fma_f64 v[56:57], v[54:55], s[12:13], -v[72:73]
	v_fma_f64 v[133:134], v[54:55], s[6:7], -v[135:136]
	v_fma_f64 v[135:136], v[54:55], s[14:15], v[147:148]
	v_fma_f64 v[147:148], v[54:55], s[8:9], v[159:160]
	v_add_f64_e32 v[26:27], v[26:27], v[42:43]
	v_add_f64_e32 v[20:21], v[20:21], v[40:41]
	;; [unrolled: 1-line block ×3, first 2 shown]
	v_fma_f64 v[159:160], v[54:55], s[0:1], v[169:170]
	v_fma_f64 v[169:170], v[54:55], s[2:3], v[177:178]
	;; [unrolled: 1-line block ×4, first 2 shown]
	v_add_f64_e32 v[201:202], v[253:254], v[201:202]
	v_add_f64_e32 v[48:49], v[48:49], v[207:208]
	v_fma_f64 v[137:138], v[52:53], s[6:7], v[137:138]
	v_fma_f64 v[149:150], v[52:53], s[14:15], -v[149:150]
	v_fma_f64 v[161:162], v[52:53], s[8:9], -v[161:162]
	;; [unrolled: 1-line block ×5, first 2 shown]
	v_add_f64_e32 v[84:85], v[165:166], v[84:85]
	v_add_f64_e32 v[119:120], v[173:174], v[119:120]
	;; [unrolled: 1-line block ×12, first 2 shown]
	v_mul_f64_e32 v[187:188], s[28:29], v[99:100]
	v_fma_f64 v[213:214], v[50:51], s[8:9], v[139:140]
	v_fma_f64 v[223:224], v[50:51], s[12:13], -v[151:152]
	v_fma_f64 v[233:234], v[50:51], s[0:1], -v[163:164]
	;; [unrolled: 1-line block ×6, first 2 shown]
	v_fma_f64 v[151:152], v[50:51], s[12:13], v[151:152]
	v_fma_f64 v[163:164], v[50:51], s[0:1], v[163:164]
	;; [unrolled: 1-line block ×3, first 2 shown]
	v_add_f64_e32 v[26:27], v[26:27], v[34:35]
	v_add_f64_e32 v[20:21], v[20:21], v[32:33]
	v_fma_f64 v[179:180], v[50:51], s[14:15], v[181:182]
	v_fma_f64 v[50:51], v[50:51], s[2:3], v[76:77]
	v_fma_f64 v[76:77], v[44:45], s[8:9], -v[141:142]
	v_fma_f64 v[141:142], v[44:45], s[8:9], v[141:142]
	v_fma_f64 v[181:182], v[44:45], s[12:13], v[153:154]
	v_fma_f64 v[153:154], v[44:45], s[12:13], -v[153:154]
	v_fma_f64 v[42:43], v[44:45], s[0:1], v[78:79]
	v_fma_f64 v[78:79], v[44:45], s[0:1], -v[78:79]
	;; [unrolled: 2-line block ×5, first 2 shown]
	v_mul_f64_e32 v[68:69], s[28:29], v[101:102]
	v_mul_f64_e32 v[215:216], s[22:23], v[99:100]
	;; [unrolled: 1-line block ×11, first 2 shown]
	v_add_f64_e32 v[28:29], v[28:29], v[80:81]
	v_add_f64_e32 v[121:122], v[211:212], v[121:122]
	;; [unrolled: 1-line block ×26, first 2 shown]
	v_mul_f64_e32 v[225:226], s[18:19], v[103:104]
	v_mul_f64_e32 v[227:228], s[18:19], v[105:106]
	v_fma_f64 v[173:174], v[107:108], s[12:13], v[187:188]
	v_fma_f64 v[36:37], v[86:87], s[12:13], -v[68:69]
	v_fma_f64 v[167:168], v[107:108], s[6:7], -v[215:216]
	v_fma_f64 v[157:158], v[86:87], s[6:7], v[217:218]
	v_fma_f64 v[80:81], v[107:108], s[2:3], -v[235:236]
	v_fma_f64 v[26:27], v[86:87], s[2:3], v[237:238]
	;; [unrolled: 2-line block ×5, first 2 shown]
	v_fma_f64 v[127:128], v[107:108], s[2:3], v[235:236]
	v_fma_f64 v[34:35], v[107:108], s[14:15], v[34:35]
	;; [unrolled: 1-line block ×5, first 2 shown]
	v_fma_f64 v[137:138], v[86:87], s[2:3], -v[237:238]
	v_fma_f64 v[32:33], v[86:87], s[14:15], -v[32:33]
	;; [unrolled: 1-line block ×3, first 2 shown]
	v_add_f64_e32 v[28:29], v[213:214], v[28:29]
	v_add_f64_e32 v[18:19], v[24:25], v[18:19]
	;; [unrolled: 1-line block ×3, first 2 shown]
	v_fma_f64 v[20:21], v[107:108], s[12:13], -v[187:188]
	v_fma_f64 v[24:25], v[107:108], s[6:7], v[215:216]
	v_fma_f64 v[107:108], v[86:87], s[6:7], -v[217:218]
	v_fma_f64 v[86:87], v[86:87], s[8:9], -v[101:102]
	v_add_f64_e32 v[76:77], v[76:77], v[121:122]
	v_add_f64_e32 v[101:102], v[223:224], v[191:192]
	;; [unrolled: 1-line block ×3, first 2 shown]
	v_mul_f64_e32 v[245:246], s[28:29], v[103:104]
	v_mul_f64_e32 v[247:248], s[28:29], v[105:106]
	v_add_f64_e32 v[147:148], v[233:234], v[193:194]
	v_add_f64_e32 v[42:43], v[42:43], v[123:124]
	v_mul_f64_e32 v[113:114], s[34:35], v[103:104]
	v_mul_f64_e32 v[209:210], s[34:35], v[105:106]
	;; [unrolled: 1-line block ×4, first 2 shown]
	v_add_f64_e32 v[123:124], v[243:244], v[195:196]
	v_add_f64_e32 v[40:41], v[40:41], v[205:206]
	v_mul_f64_e32 v[155:156], s[26:27], v[103:104]
	v_mul_f64_e32 v[165:166], s[26:27], v[105:106]
	v_add_f64_e32 v[58:59], v[58:59], v[197:198]
	v_add_f64_e32 v[30:31], v[60:61], v[30:31]
	v_mul_f64_e32 v[103:104], s[22:23], v[103:104]
	v_mul_f64_e32 v[105:106], s[22:23], v[105:106]
	v_add_f64_e32 v[56:57], v[74:75], v[56:57]
	v_add_f64_e32 v[48:49], v[185:186], v[48:49]
	;; [unrolled: 1-line block ×16, first 2 shown]
	v_fma_f64 v[145:146], v[109:110], s[0:1], -v[225:226]
	v_fma_f64 v[199:200], v[111:112], s[0:1], v[227:228]
	v_add_f64_e32 v[16:17], v[173:174], v[28:29]
	v_add_f64_e32 v[18:19], v[36:37], v[76:77]
	;; [unrolled: 1-line block ×4, first 2 shown]
	v_fma_f64 v[22:23], v[109:110], s[12:13], -v[245:246]
	v_fma_f64 v[211:212], v[111:112], s[12:13], v[247:248]
	v_add_f64_e32 v[76:77], v[80:81], v[147:148]
	v_add_f64_e32 v[26:27], v[26:27], v[42:43]
	v_fma_f64 v[70:71], v[109:110], s[14:15], v[113:114]
	v_fma_f64 v[175:176], v[111:112], s[14:15], -v[209:210]
	v_fma_f64 v[229:230], v[109:110], s[2:3], -v[253:254]
	v_fma_f64 v[231:232], v[111:112], s[2:3], v[207:208]
	v_add_f64_e32 v[42:43], v[219:220], v[123:124]
	v_add_f64_e32 v[40:41], v[221:222], v[40:41]
	v_fma_f64 v[249:250], v[109:110], s[8:9], -v[155:156]
	v_fma_f64 v[251:252], v[111:112], s[8:9], v[165:166]
	v_add_f64_e32 v[58:59], v[239:240], v[58:59]
	v_add_f64_e32 v[30:31], v[241:242], v[30:31]
	;; [unrolled: 4-line block ×3, first 2 shown]
	v_fma_f64 v[103:104], v[109:110], s[6:7], v[103:104]
	v_fma_f64 v[105:106], v[111:112], s[6:7], -v[105:106]
	v_add_f64_e32 v[34:35], v[34:35], v[38:39]
	v_add_f64_e32 v[38:39], v[129:130], v[84:85]
	;; [unrolled: 1-line block ×4, first 2 shown]
	v_fma_f64 v[117:118], v[109:110], s[8:9], v[155:156]
	v_fma_f64 v[139:140], v[111:112], s[8:9], -v[165:166]
	v_add_f64_e32 v[86:87], v[143:144], v[44:45]
	v_fma_f64 v[62:63], v[109:110], s[14:15], -v[113:114]
	v_fma_f64 v[113:114], v[109:110], s[2:3], v[253:254]
	v_fma_f64 v[131:132], v[111:112], s[2:3], -v[207:208]
	v_add_f64_e32 v[99:100], v[32:33], v[50:51]
	v_fma_f64 v[82:83], v[109:110], s[12:13], v[245:246]
	v_fma_f64 v[125:126], v[111:112], s[12:13], -v[247:248]
	v_add_f64_e32 v[72:73], v[24:25], v[74:75]
	v_add_f64_e32 v[74:75], v[127:128], v[115:116]
	v_add_f64_e32 v[52:53], v[137:138], v[52:53]
	v_fma_f64 v[78:79], v[109:110], s[0:1], v[225:226]
	v_fma_f64 v[119:120], v[111:112], s[0:1], -v[227:228]
	v_add_f64_e32 v[54:55], v[107:108], v[54:55]
	v_fma_f64 v[109:110], v[111:112], s[14:15], v[209:210]
	v_add_f64_e32 v[60:61], v[20:21], v[60:61]
	v_add_f64_e32 v[68:69], v[68:69], v[46:47]
	;; [unrolled: 1-line block ×16, first 2 shown]
	v_cmp_gt_u32_e64 s0, 13, v88
	v_add_f64_e32 v[48:49], v[103:104], v[80:81]
	v_add_f64_e32 v[50:51], v[105:106], v[84:85]
	;; [unrolled: 1-line block ×14, first 2 shown]
	v_and_b32_e32 v4, 0xffff, v93
	v_lshlrev_b32_e32 v5, 4, v94
                                        ; implicit-def: $vgpr6_vgpr7
	s_delay_alu instid0(VALU_DEP_2) | instskip(NEXT) | instid1(VALU_DEP_1)
	v_mul_u32_u24_e32 v4, 0xa90, v4
	v_add3_u32 v4, 0, v4, v5
	ds_store_b128 v4, v[8:11] offset:416
	ds_store_b128 v4, v[12:15] offset:624
	;; [unrolled: 1-line block ×12, first 2 shown]
	ds_store_b128 v4, v[52:55]
	global_wb scope:SCOPE_SE
	s_wait_dscnt 0x0
	s_barrier_signal -1
	s_barrier_wait -1
	global_inv scope:SCOPE_SE
	ds_load_b128 v[16:19], v96
	ds_load_b128 v[40:43], v96 offset:2704
	ds_load_b128 v[44:47], v96 offset:5408
	;; [unrolled: 1-line block ×3, first 2 shown]
	ds_load_b128 v[24:27], v97
	ds_load_b128 v[20:23], v98
	ds_load_b128 v[48:51], v96 offset:3536
	ds_load_b128 v[32:35], v96 offset:4368
	;; [unrolled: 1-line block ×6, first 2 shown]
                                        ; implicit-def: $vgpr10_vgpr11
                                        ; implicit-def: $vgpr14_vgpr15
	s_and_saveexec_b32 s1, s0
	s_cbranch_execz .LBB0_15
; %bb.14:
	v_mul_i32_i24_e32 v0, 0xffffff40, v88
	s_delay_alu instid0(VALU_DEP_1)
	v_add_nc_u32_e32 v12, v92, v0
	ds_load_b128 v[0:3], v95
	ds_load_b128 v[4:7], v12 offset:5200
	ds_load_b128 v[8:11], v12 offset:7904
	;; [unrolled: 1-line block ×3, first 2 shown]
.LBB0_15:
	s_wait_alu 0xfffe
	s_or_b32 exec_lo, exec_lo, s1
	s_and_saveexec_b32 s1, vcc_lo
	s_cbranch_execz .LBB0_18
; %bb.16:
	v_mul_i32_i24_e32 v68, 3, v91
	v_mul_u32_u24_e32 v70, 3, v88
	v_mov_b32_e32 v69, 0
	v_mul_hi_u32 v111, 0x60f25deb, v88
	v_mul_lo_u32 v110, s44, v67
	v_add_nc_u32_e32 v128, 52, v88
	v_lshlrev_b32_e32 v78, 4, v70
	v_lshlrev_b64_e32 v[82:83], 4, v[68:69]
	v_mul_i32_i24_e32 v68, 3, v90
	s_clause 0x2
	global_load_b128 v[70:73], v78, s[4:5] offset:2528
	global_load_b128 v[74:77], v78, s[4:5] offset:2512
	;; [unrolled: 1-line block ×3, first 2 shown]
	v_mul_hi_u32 v112, 0x60f25deb, v128
	v_lshlrev_b64_e32 v[84:85], 4, v[68:69]
	v_add_co_u32 v86, vcc_lo, s4, v82
	s_wait_alu 0xfffd
	v_add_co_ci_u32_e32 v87, vcc_lo, s5, v83, vcc_lo
	v_mul_lo_u32 v68, s45, v66
	s_delay_alu instid0(VALU_DEP_4)
	v_add_co_u32 v106, vcc_lo, s4, v84
	s_wait_alu 0xfffd
	v_add_co_ci_u32_e32 v107, vcc_lo, s5, v85, vcc_lo
	s_clause 0x5
	global_load_b128 v[82:85], v[86:87], off offset:2512
	global_load_b128 v[90:93], v[86:87], off offset:2496
	;; [unrolled: 1-line block ×6, first 2 shown]
	v_mad_co_u64_u32 v[66:67], null, s44, v66, 0
	v_lshlrev_b64_e32 v[86:87], 4, v[64:65]
	v_lshrrev_b32_e32 v65, 6, v111
	v_lshrrev_b32_e32 v134, 6, v112
	s_delay_alu instid0(VALU_DEP_4) | instskip(NEXT) | instid1(VALU_DEP_3)
	v_add3_u32 v67, v67, v110, v68
	v_mul_lo_u32 v130, 0xa9, v65
	s_delay_alu instid0(VALU_DEP_3) | instskip(NEXT) | instid1(VALU_DEP_3)
	v_mul_lo_u32 v131, 0xa9, v134
	v_lshlrev_b64_e32 v[65:66], 4, v[66:67]
	s_delay_alu instid0(VALU_DEP_3) | instskip(NEXT) | instid1(VALU_DEP_1)
	v_sub_nc_u32_e32 v136, v88, v130
	v_add_nc_u32_e32 v138, 0x152, v136
	v_add_nc_u32_e32 v139, 0x1fb, v136
	s_wait_loadcnt_dscnt 0x709
	v_mul_f64_e32 v[67:68], v[46:47], v[74:75]
	s_wait_loadcnt 0x6
	v_mul_f64_e32 v[110:111], v[42:43], v[80:81]
	v_mul_f64_e32 v[46:47], v[46:47], v[76:77]
	;; [unrolled: 1-line block ×3, first 2 shown]
	s_wait_loadcnt_dscnt 0x502
	v_mul_f64_e32 v[114:115], v[38:39], v[82:83]
	s_wait_loadcnt 0x4
	v_mul_f64_e32 v[116:117], v[34:35], v[92:93]
	s_wait_loadcnt_dscnt 0x300
	v_mul_f64_e32 v[118:119], v[54:55], v[96:97]
	s_wait_loadcnt 0x2
	v_mul_f64_e32 v[120:121], v[30:31], v[98:99]
	v_mul_f64_e32 v[126:127], v[30:31], v[100:101]
	v_add_co_u32 v30, s1, s10, v65
	s_wait_alu 0xf1fe
	v_add_co_ci_u32_e64 v31, s1, s11, v66, s1
	v_mad_co_u64_u32 v[65:66], null, s16, v136, 0
	v_add_nc_u32_e32 v129, 0x68, v88
	s_wait_loadcnt 0x1
	v_mul_f64_e32 v[122:123], v[50:51], v[104:105]
	v_mul_f64_e32 v[104:105], v[48:49], v[104:105]
	s_wait_loadcnt 0x0
	v_mul_f64_e32 v[124:125], v[56:57], v[108:109]
	v_mul_f64_e32 v[108:109], v[58:59], v[108:109]
	v_mul_hi_u32 v113, 0x60f25deb, v129
	v_mul_f64_e32 v[38:39], v[38:39], v[84:85]
	v_mul_f64_e32 v[92:93], v[32:33], v[92:93]
	v_mul_f64_e32 v[96:97], v[52:53], v[96:97]
	v_add_co_u32 v30, s1, v30, v86
	v_sub_nc_u32_e32 v86, v128, v131
	v_mad_co_u64_u32 v[130:131], null, s16, v138, 0
	v_lshrrev_b32_e32 v135, 6, v113
	v_mul_f64_e32 v[112:113], v[62:63], v[72:73]
	v_mul_f64_e32 v[72:73], v[60:61], v[72:73]
	v_add_nc_u32_e32 v137, 0xa9, v136
	s_wait_alu 0xf1ff
	v_add_co_ci_u32_e64 v31, s1, v31, v87, s1
	v_fma_f64 v[40:41], v[40:41], v[78:79], -v[110:111]
	v_fma_f64 v[67:68], v[44:45], v[76:77], v[67:68]
	v_fma_f64 v[44:45], v[44:45], v[74:75], -v[46:47]
	v_fma_f64 v[42:43], v[42:43], v[78:79], v[80:81]
	v_mul_lo_u32 v132, 0xa9, v135
	v_fma_f64 v[32:33], v[32:33], v[90:91], -v[116:117]
	v_fma_f64 v[52:53], v[52:53], v[94:95], -v[118:119]
	v_fma_f64 v[48:49], v[48:49], v[102:103], -v[122:123]
	v_fma_f64 v[50:51], v[50:51], v[102:103], v[104:105]
	v_fma_f64 v[58:59], v[58:59], v[106:107], v[124:125]
	v_fma_f64 v[56:57], v[56:57], v[106:107], -v[108:109]
	v_fma_f64 v[34:35], v[34:35], v[90:91], v[92:93]
	v_fma_f64 v[54:55], v[54:55], v[94:95], v[96:97]
	v_fma_f64 v[60:61], v[60:61], v[70:71], -v[112:113]
	;; [unrolled: 3-line block ×3, first 2 shown]
	v_fma_f64 v[62:63], v[36:37], v[84:85], v[114:115]
	v_fma_f64 v[36:37], v[36:37], v[82:83], -v[38:39]
	v_mov_b32_e32 v38, v66
	v_mov_b32_e32 v66, v131
	v_sub_nc_u32_e32 v87, v129, v132
	v_mad_co_u64_u32 v[128:129], null, s16, v137, 0
	s_delay_alu instid0(VALU_DEP_4) | instskip(NEXT) | instid1(VALU_DEP_3)
	v_mad_co_u64_u32 v[38:39], null, s17, v136, v[38:39]
	v_mad_co_u64_u32 v[72:73], null, 0x2a4, v134, v[86:87]
	;; [unrolled: 1-line block ×3, first 2 shown]
	s_delay_alu instid0(VALU_DEP_4) | instskip(SKIP_3) | instid1(VALU_DEP_4)
	v_mov_b32_e32 v39, v129
	v_add_f64_e64 v[44:45], v[16:17], -v[44:45]
	v_mad_co_u64_u32 v[73:74], null, 0x2a4, v135, v[87:88]
	v_mad_co_u64_u32 v[75:76], null, s16, v72, 0
	;; [unrolled: 1-line block ×3, first 2 shown]
	v_mov_b32_e32 v74, v133
	v_add_f64_e64 v[58:59], v[50:51], -v[58:59]
	v_add_f64_e64 v[56:57], v[48:49], -v[56:57]
	;; [unrolled: 1-line block ×3, first 2 shown]
	v_mad_co_u64_u32 v[77:78], null, s16, v73, 0
	v_mov_b32_e32 v129, v79
	v_mad_co_u64_u32 v[80:81], null, s17, v138, v[66:67]
	v_add_f64_e64 v[67:68], v[18:19], -v[67:68]
	v_mad_co_u64_u32 v[81:82], null, s17, v139, v[74:75]
	v_add_f64_e64 v[54:55], v[34:35], -v[54:55]
	v_add_f64_e64 v[60:61], v[40:41], -v[60:61]
	;; [unrolled: 1-line block ×7, first 2 shown]
	v_dual_mov_b32 v131, v80 :: v_dual_add_nc_u32 v112, 0xa9, v72
	v_add_nc_u32_e32 v116, 0xa9, v73
	v_dual_mov_b32 v133, v81 :: v_dual_add_nc_u32 v114, 0x152, v72
	v_dual_mov_b32 v66, v38 :: v_dual_add_nc_u32 v115, 0x1fb, v72
	s_delay_alu instid0(VALU_DEP_4) | instskip(NEXT) | instid1(VALU_DEP_4)
	v_mad_co_u64_u32 v[84:85], null, s16, v112, 0
	v_mad_co_u64_u32 v[92:93], null, s16, v116, 0
	s_delay_alu instid0(VALU_DEP_4)
	v_mad_co_u64_u32 v[86:87], null, s16, v114, 0
	v_fma_f64 v[98:99], v[16:17], 2.0, -v[44:45]
	v_lshlrev_b64_e32 v[38:39], 4, v[65:66]
	v_dual_mov_b32 v37, v78 :: v_dual_add_nc_u32 v64, 0x9c, v88
	v_mad_co_u64_u32 v[90:91], null, s16, v115, 0
	v_dual_mov_b32 v36, v76 :: v_dual_add_nc_u32 v117, 0x152, v73
	v_add_nc_u32_e32 v118, 0x1fb, v73
	s_delay_alu instid0(VALU_DEP_4) | instskip(NEXT) | instid1(VALU_DEP_3)
	v_mad_co_u64_u32 v[73:74], null, s17, v73, v[37:38]
	v_mad_co_u64_u32 v[94:95], null, s16, v117, 0
	s_delay_alu instid0(VALU_DEP_4)
	v_mad_co_u64_u32 v[65:66], null, s17, v72, v[36:37]
	v_fma_f64 v[79:80], v[18:19], 2.0, -v[67:68]
	v_dual_mov_b32 v36, v85 :: v_dual_mov_b32 v37, v93
	v_mov_b32_e32 v66, v87
	v_fma_f64 v[16:17], v[40:41], 2.0, -v[60:61]
	v_fma_f64 v[42:43], v[42:43], 2.0, -v[46:47]
	v_fma_f64 v[100:101], v[26:27], 2.0, -v[70:71]
	v_fma_f64 v[40:41], v[50:51], 2.0, -v[58:59]
	v_fma_f64 v[102:103], v[24:25], 2.0, -v[28:29]
	v_fma_f64 v[24:25], v[48:49], 2.0, -v[56:57]
	v_fma_f64 v[104:105], v[22:23], 2.0, -v[62:63]
	v_fma_f64 v[48:49], v[34:35], 2.0, -v[54:55]
	v_fma_f64 v[106:107], v[20:21], 2.0, -v[82:83]
	v_fma_f64 v[50:51], v[32:33], 2.0, -v[52:53]
	v_mov_b32_e32 v72, v91
	v_mad_co_u64_u32 v[96:97], null, s16, v118, 0
	v_mad_co_u64_u32 v[112:113], null, s17, v112, v[36:37]
	v_mad_co_u64_u32 v[113:114], null, s17, v114, v[66:67]
	s_delay_alu instid0(VALU_DEP_4)
	v_mad_co_u64_u32 v[114:115], null, s17, v115, v[72:73]
	v_mad_co_u64_u32 v[115:116], null, s17, v116, v[37:38]
	v_dual_mov_b32 v18, v95 :: v_dual_mov_b32 v19, v97
	v_lshlrev_b64_e32 v[20:21], 4, v[128:129]
	v_add_f64_e32 v[26:27], v[70:71], v[56:57]
	v_add_f64_e64 v[36:37], v[82:83], -v[54:55]
	v_lshlrev_b64_e32 v[108:109], 4, v[130:131]
	v_mov_b32_e32 v93, v115
	v_mad_co_u64_u32 v[116:117], null, s17, v117, v[18:19]
	v_mad_co_u64_u32 v[117:118], null, s17, v118, v[19:20]
	v_add_co_u32 v118, s1, v30, v38
	s_wait_alu 0xf1ff
	v_add_co_ci_u32_e64 v119, s1, v31, v39, s1
	v_add_co_u32 v72, s1, v30, v20
	s_delay_alu instid0(VALU_DEP_4)
	v_dual_mov_b32 v78, v73 :: v_dual_mov_b32 v97, v117
	s_wait_alu 0xf1ff
	v_add_co_ci_u32_e64 v73, s1, v31, v21, s1
	v_add_f64_e64 v[22:23], v[79:80], -v[42:43]
	v_add_f64_e64 v[20:21], v[98:99], -v[16:17]
	v_add_f64_e32 v[18:19], v[67:68], v[60:61]
	v_add_f64_e64 v[16:17], v[44:45], -v[46:47]
	v_add_f64_e64 v[34:35], v[100:101], -v[40:41]
	;; [unrolled: 1-line block ×6, first 2 shown]
	v_add_f64_e32 v[38:39], v[62:63], v[52:53]
	v_dual_mov_b32 v76, v65 :: v_dual_mov_b32 v95, v116
	v_lshlrev_b64_e32 v[110:111], 4, v[132:133]
	v_add_co_u32 v108, s1, v30, v108
	s_delay_alu instid0(VALU_DEP_3)
	v_lshlrev_b64_e32 v[46:47], 4, v[75:76]
	v_mov_b32_e32 v85, v112
	v_mov_b32_e32 v87, v113
	;; [unrolled: 1-line block ×3, first 2 shown]
	s_wait_alu 0xf1ff
	v_add_co_ci_u32_e64 v109, s1, v31, v109, s1
	v_add_co_u32 v110, s1, v30, v110
	s_wait_alu 0xf1ff
	v_add_co_ci_u32_e64 v111, s1, v31, v111, s1
	v_lshlrev_b64_e32 v[74:75], 4, v[77:78]
	v_lshlrev_b64_e32 v[76:77], 4, v[84:85]
	;; [unrolled: 1-line block ×7, first 2 shown]
	v_add_co_u32 v96, s1, v30, v46
	s_wait_alu 0xf1ff
	v_add_co_ci_u32_e64 v97, s1, v31, v47, s1
	v_fma_f64 v[54:55], v[70:71], 2.0, -v[26:27]
	v_fma_f64 v[60:61], v[82:83], 2.0, -v[36:37]
	;; [unrolled: 1-line block ×12, first 2 shown]
	v_add_co_u32 v28, s1, v30, v74
	s_wait_alu 0xf1ff
	v_add_co_ci_u32_e64 v29, s1, v31, v75, s1
	v_add_co_u32 v70, s1, v30, v76
	s_wait_alu 0xf1ff
	v_add_co_ci_u32_e64 v71, s1, v31, v77, s1
	;; [unrolled: 3-line block ×5, first 2 shown]
	v_cmp_gt_u32_e32 vcc_lo, 0xa9, v64
	v_add_co_u32 v80, s1, v30, v92
	s_wait_alu 0xf1ff
	v_add_co_ci_u32_e64 v81, s1, v31, v93, s1
	v_add_co_u32 v82, s1, v30, v94
	s_wait_alu 0xf1ff
	v_add_co_ci_u32_e64 v83, s1, v31, v95, s1
	s_clause 0xb
	global_store_b128 v[118:119], v[48:51], off
	global_store_b128 v[72:73], v[44:47], off
	;; [unrolled: 1-line block ×12, first 2 shown]
	s_and_b32 exec_lo, exec_lo, vcc_lo
	s_cbranch_execz .LBB0_18
; %bb.17:
	v_add_nc_u32_e32 v16, -13, v88
	s_delay_alu instid0(VALU_DEP_1) | instskip(NEXT) | instid1(VALU_DEP_1)
	v_cndmask_b32_e64 v16, v16, v89, s0
	v_mul_i32_i24_e32 v68, 3, v16
	s_delay_alu instid0(VALU_DEP_1) | instskip(NEXT) | instid1(VALU_DEP_1)
	v_lshlrev_b64_e32 v[16:17], 4, v[68:69]
	v_add_co_u32 v24, vcc_lo, s4, v16
	s_wait_alu 0xfffd
	s_delay_alu instid0(VALU_DEP_2)
	v_add_co_ci_u32_e32 v25, vcc_lo, s5, v17, vcc_lo
	s_clause 0x2
	global_load_b128 v[16:19], v[24:25], off offset:2496
	global_load_b128 v[20:23], v[24:25], off offset:2512
	;; [unrolled: 1-line block ×3, first 2 shown]
	s_wait_loadcnt 0x2
	v_mul_f64_e32 v[28:29], v[6:7], v[18:19]
	v_mul_f64_e32 v[18:19], v[4:5], v[18:19]
	s_wait_loadcnt 0x1
	v_mul_f64_e32 v[32:33], v[10:11], v[22:23]
	v_mul_f64_e32 v[22:23], v[8:9], v[22:23]
	;; [unrolled: 3-line block ×3, first 2 shown]
	v_fma_f64 v[4:5], v[4:5], v[16:17], -v[28:29]
	v_fma_f64 v[6:7], v[6:7], v[16:17], v[18:19]
	v_fma_f64 v[8:9], v[8:9], v[20:21], -v[32:33]
	v_fma_f64 v[10:11], v[10:11], v[20:21], v[22:23]
	;; [unrolled: 2-line block ×3, first 2 shown]
	v_mad_co_u64_u32 v[20:21], null, s16, v64, 0
	v_add_nc_u32_e32 v33, 0x1ee, v88
	v_add_nc_u32_e32 v34, 0x297, v88
	s_delay_alu instid0(VALU_DEP_1) | instskip(SKIP_4) | instid1(VALU_DEP_4)
	v_mad_co_u64_u32 v[26:27], null, s16, v34, 0
	v_add_f64_e64 v[8:9], v[0:1], -v[8:9]
	v_add_f64_e64 v[10:11], v[2:3], -v[10:11]
	;; [unrolled: 1-line block ×4, first 2 shown]
	v_fma_f64 v[16:17], v[0:1], 2.0, -v[8:9]
	s_delay_alu instid0(VALU_DEP_4) | instskip(NEXT) | instid1(VALU_DEP_4)
	v_fma_f64 v[18:19], v[2:3], 2.0, -v[10:11]
	v_fma_f64 v[2:3], v[4:5], 2.0, -v[12:13]
	s_delay_alu instid0(VALU_DEP_4) | instskip(SKIP_1) | instid1(VALU_DEP_3)
	v_fma_f64 v[6:7], v[6:7], 2.0, -v[14:15]
	v_add_f64_e64 v[0:1], v[8:9], -v[14:15]
	v_add_f64_e64 v[4:5], v[16:17], -v[2:3]
	s_delay_alu instid0(VALU_DEP_3)
	v_add_f64_e64 v[6:7], v[18:19], -v[6:7]
	v_add_f64_e32 v[2:3], v[10:11], v[12:13]
	v_mov_b32_e32 v12, v21
	v_mad_co_u64_u32 v[24:25], null, s16, v33, 0
	v_add_nc_u32_e32 v32, 0x145, v88
	v_fma_f64 v[8:9], v[8:9], 2.0, -v[0:1]
	s_delay_alu instid0(VALU_DEP_4) | instskip(NEXT) | instid1(VALU_DEP_3)
	v_mad_co_u64_u32 v[28:29], null, s17, v64, v[12:13]
	v_mad_co_u64_u32 v[22:23], null, s16, v32, 0
	s_delay_alu instid0(VALU_DEP_1)
	v_mov_b32_e32 v21, v23
	v_mov_b32_e32 v23, v25
	;; [unrolled: 1-line block ×3, first 2 shown]
	v_fma_f64 v[12:13], v[16:17], 2.0, -v[4:5]
	v_fma_f64 v[14:15], v[18:19], 2.0, -v[6:7]
	;; [unrolled: 1-line block ×3, first 2 shown]
	v_mad_co_u64_u32 v[16:17], null, s17, v32, v[21:22]
	v_mad_co_u64_u32 v[17:18], null, s17, v33, v[23:24]
	;; [unrolled: 1-line block ×3, first 2 shown]
	v_mov_b32_e32 v21, v28
	s_delay_alu instid0(VALU_DEP_4) | instskip(NEXT) | instid1(VALU_DEP_4)
	v_mov_b32_e32 v23, v16
	v_mov_b32_e32 v25, v17
	s_delay_alu instid0(VALU_DEP_3) | instskip(SKIP_1) | instid1(VALU_DEP_4)
	v_lshlrev_b64_e32 v[16:17], 4, v[20:21]
	v_mov_b32_e32 v27, v18
	v_lshlrev_b64_e32 v[18:19], 4, v[22:23]
	s_delay_alu instid0(VALU_DEP_4) | instskip(NEXT) | instid1(VALU_DEP_4)
	v_lshlrev_b64_e32 v[20:21], 4, v[24:25]
	v_add_co_u32 v16, vcc_lo, v30, v16
	s_wait_alu 0xfffd
	v_add_co_ci_u32_e32 v17, vcc_lo, v31, v17, vcc_lo
	v_lshlrev_b64_e32 v[22:23], 4, v[26:27]
	v_add_co_u32 v18, vcc_lo, v30, v18
	s_wait_alu 0xfffd
	v_add_co_ci_u32_e32 v19, vcc_lo, v31, v19, vcc_lo
	v_add_co_u32 v20, vcc_lo, v30, v20
	s_wait_alu 0xfffd
	v_add_co_ci_u32_e32 v21, vcc_lo, v31, v21, vcc_lo
	;; [unrolled: 3-line block ×3, first 2 shown]
	s_clause 0x3
	global_store_b128 v[16:17], v[12:15], off
	global_store_b128 v[18:19], v[8:11], off
	;; [unrolled: 1-line block ×4, first 2 shown]
.LBB0_18:
	s_nop 0
	s_sendmsg sendmsg(MSG_DEALLOC_VGPRS)
	s_endpgm
	.section	.rodata,"a",@progbits
	.p2align	6, 0x0
	.amdhsa_kernel fft_rtc_fwd_len676_factors_13_13_4_wgs_52_tpt_52_dp_op_CI_CI_sbrr_dirReg
		.amdhsa_group_segment_fixed_size 0
		.amdhsa_private_segment_fixed_size 0
		.amdhsa_kernarg_size 104
		.amdhsa_user_sgpr_count 2
		.amdhsa_user_sgpr_dispatch_ptr 0
		.amdhsa_user_sgpr_queue_ptr 0
		.amdhsa_user_sgpr_kernarg_segment_ptr 1
		.amdhsa_user_sgpr_dispatch_id 0
		.amdhsa_user_sgpr_private_segment_size 0
		.amdhsa_wavefront_size32 1
		.amdhsa_uses_dynamic_stack 0
		.amdhsa_enable_private_segment 0
		.amdhsa_system_sgpr_workgroup_id_x 1
		.amdhsa_system_sgpr_workgroup_id_y 0
		.amdhsa_system_sgpr_workgroup_id_z 0
		.amdhsa_system_sgpr_workgroup_info 0
		.amdhsa_system_vgpr_workitem_id 0
		.amdhsa_next_free_vgpr 256
		.amdhsa_next_free_sgpr 46
		.amdhsa_reserve_vcc 1
		.amdhsa_float_round_mode_32 0
		.amdhsa_float_round_mode_16_64 0
		.amdhsa_float_denorm_mode_32 3
		.amdhsa_float_denorm_mode_16_64 3
		.amdhsa_fp16_overflow 0
		.amdhsa_workgroup_processor_mode 1
		.amdhsa_memory_ordered 1
		.amdhsa_forward_progress 0
		.amdhsa_round_robin_scheduling 0
		.amdhsa_exception_fp_ieee_invalid_op 0
		.amdhsa_exception_fp_denorm_src 0
		.amdhsa_exception_fp_ieee_div_zero 0
		.amdhsa_exception_fp_ieee_overflow 0
		.amdhsa_exception_fp_ieee_underflow 0
		.amdhsa_exception_fp_ieee_inexact 0
		.amdhsa_exception_int_div_zero 0
	.end_amdhsa_kernel
	.text
.Lfunc_end0:
	.size	fft_rtc_fwd_len676_factors_13_13_4_wgs_52_tpt_52_dp_op_CI_CI_sbrr_dirReg, .Lfunc_end0-fft_rtc_fwd_len676_factors_13_13_4_wgs_52_tpt_52_dp_op_CI_CI_sbrr_dirReg
                                        ; -- End function
	.section	.AMDGPU.csdata,"",@progbits
; Kernel info:
; codeLenInByte = 10900
; NumSgprs: 48
; NumVgprs: 256
; ScratchSize: 0
; MemoryBound: 1
; FloatMode: 240
; IeeeMode: 1
; LDSByteSize: 0 bytes/workgroup (compile time only)
; SGPRBlocks: 5
; VGPRBlocks: 31
; NumSGPRsForWavesPerEU: 48
; NumVGPRsForWavesPerEU: 256
; Occupancy: 5
; WaveLimiterHint : 1
; COMPUTE_PGM_RSRC2:SCRATCH_EN: 0
; COMPUTE_PGM_RSRC2:USER_SGPR: 2
; COMPUTE_PGM_RSRC2:TRAP_HANDLER: 0
; COMPUTE_PGM_RSRC2:TGID_X_EN: 1
; COMPUTE_PGM_RSRC2:TGID_Y_EN: 0
; COMPUTE_PGM_RSRC2:TGID_Z_EN: 0
; COMPUTE_PGM_RSRC2:TIDIG_COMP_CNT: 0
	.text
	.p2alignl 7, 3214868480
	.fill 96, 4, 3214868480
	.type	__hip_cuid_6af71d94ea47a897,@object ; @__hip_cuid_6af71d94ea47a897
	.section	.bss,"aw",@nobits
	.globl	__hip_cuid_6af71d94ea47a897
__hip_cuid_6af71d94ea47a897:
	.byte	0                               ; 0x0
	.size	__hip_cuid_6af71d94ea47a897, 1

	.ident	"AMD clang version 19.0.0git (https://github.com/RadeonOpenCompute/llvm-project roc-6.4.0 25133 c7fe45cf4b819c5991fe208aaa96edf142730f1d)"
	.section	".note.GNU-stack","",@progbits
	.addrsig
	.addrsig_sym __hip_cuid_6af71d94ea47a897
	.amdgpu_metadata
---
amdhsa.kernels:
  - .args:
      - .actual_access:  read_only
        .address_space:  global
        .offset:         0
        .size:           8
        .value_kind:     global_buffer
      - .offset:         8
        .size:           8
        .value_kind:     by_value
      - .actual_access:  read_only
        .address_space:  global
        .offset:         16
        .size:           8
        .value_kind:     global_buffer
      - .actual_access:  read_only
        .address_space:  global
        .offset:         24
        .size:           8
        .value_kind:     global_buffer
      - .actual_access:  read_only
        .address_space:  global
        .offset:         32
        .size:           8
        .value_kind:     global_buffer
      - .offset:         40
        .size:           8
        .value_kind:     by_value
      - .actual_access:  read_only
        .address_space:  global
        .offset:         48
        .size:           8
        .value_kind:     global_buffer
      - .actual_access:  read_only
        .address_space:  global
        .offset:         56
        .size:           8
        .value_kind:     global_buffer
      - .offset:         64
        .size:           4
        .value_kind:     by_value
      - .actual_access:  read_only
        .address_space:  global
        .offset:         72
        .size:           8
        .value_kind:     global_buffer
      - .actual_access:  read_only
        .address_space:  global
        .offset:         80
        .size:           8
        .value_kind:     global_buffer
      - .actual_access:  read_only
        .address_space:  global
        .offset:         88
        .size:           8
        .value_kind:     global_buffer
      - .actual_access:  write_only
        .address_space:  global
        .offset:         96
        .size:           8
        .value_kind:     global_buffer
    .group_segment_fixed_size: 0
    .kernarg_segment_align: 8
    .kernarg_segment_size: 104
    .language:       OpenCL C
    .language_version:
      - 2
      - 0
    .max_flat_workgroup_size: 52
    .name:           fft_rtc_fwd_len676_factors_13_13_4_wgs_52_tpt_52_dp_op_CI_CI_sbrr_dirReg
    .private_segment_fixed_size: 0
    .sgpr_count:     48
    .sgpr_spill_count: 0
    .symbol:         fft_rtc_fwd_len676_factors_13_13_4_wgs_52_tpt_52_dp_op_CI_CI_sbrr_dirReg.kd
    .uniform_work_group_size: 1
    .uses_dynamic_stack: false
    .vgpr_count:     256
    .vgpr_spill_count: 0
    .wavefront_size: 32
    .workgroup_processor_mode: 1
amdhsa.target:   amdgcn-amd-amdhsa--gfx1201
amdhsa.version:
  - 1
  - 2
...

	.end_amdgpu_metadata
